;; amdgpu-corpus repo=ROCm/rocFFT kind=compiled arch=gfx1201 opt=O3
	.text
	.amdgcn_target "amdgcn-amd-amdhsa--gfx1201"
	.amdhsa_code_object_version 6
	.protected	bluestein_single_fwd_len340_dim1_sp_op_CI_CI ; -- Begin function bluestein_single_fwd_len340_dim1_sp_op_CI_CI
	.globl	bluestein_single_fwd_len340_dim1_sp_op_CI_CI
	.p2align	8
	.type	bluestein_single_fwd_len340_dim1_sp_op_CI_CI,@function
bluestein_single_fwd_len340_dim1_sp_op_CI_CI: ; @bluestein_single_fwd_len340_dim1_sp_op_CI_CI
; %bb.0:
	s_load_b128 s[4:7], s[0:1], 0x28
	v_mul_u32_u24_e32 v1, 0x788, v0
	s_mov_b32 s2, exec_lo
	s_delay_alu instid0(VALU_DEP_1) | instskip(NEXT) | instid1(VALU_DEP_1)
	v_lshrrev_b32_e32 v1, 16, v1
	v_mad_co_u64_u32 v[40:41], null, ttmp9, 3, v[1:2]
	v_mov_b32_e32 v41, 0
                                        ; kill: def $vgpr2 killed $sgpr0 killed $exec
	s_wait_kmcnt 0x0
	s_delay_alu instid0(VALU_DEP_1)
	v_cmpx_gt_u64_e64 s[4:5], v[40:41]
	s_cbranch_execz .LBB0_15
; %bb.1:
	v_mul_hi_u32 v2, 0xaaaaaaab, v40
	v_mul_lo_u16 v1, v1, 34
	s_clause 0x1
	s_load_b64 s[12:13], s[0:1], 0x0
	s_load_b64 s[14:15], s[0:1], 0x38
	s_delay_alu instid0(VALU_DEP_1) | instskip(NEXT) | instid1(VALU_DEP_3)
	v_sub_nc_u16 v0, v0, v1
	v_lshrrev_b32_e32 v2, 1, v2
	s_delay_alu instid0(VALU_DEP_2) | instskip(SKIP_1) | instid1(VALU_DEP_3)
	v_and_b32_e32 v80, 0xffff, v0
	v_cmp_gt_u16_e32 vcc_lo, 20, v0
	v_lshl_add_u32 v2, v2, 1, v2
	s_delay_alu instid0(VALU_DEP_3) | instskip(SKIP_1) | instid1(VALU_DEP_3)
	v_lshlrev_b32_e32 v78, 3, v80
	v_or_b32_e32 v79, 0xa0, v80
	v_sub_nc_u32_e32 v1, v40, v2
	v_or_b32_e32 v77, 0x140, v80
	s_delay_alu instid0(VALU_DEP_2) | instskip(NEXT) | instid1(VALU_DEP_1)
	v_mul_u32_u24_e32 v61, 0x154, v1
	v_lshlrev_b32_e32 v81, 3, v61
	s_and_saveexec_b32 s3, vcc_lo
	s_cbranch_execz .LBB0_3
; %bb.2:
	s_load_b64 s[4:5], s[0:1], 0x18
	s_delay_alu instid0(VALU_DEP_1)
	v_lshl_add_u32 v60, v80, 3, v81
	s_wait_kmcnt 0x0
	s_load_b128 s[8:11], s[4:5], 0x0
	s_wait_kmcnt 0x0
	v_mad_co_u64_u32 v[0:1], null, s10, v40, 0
	v_mad_co_u64_u32 v[2:3], null, s8, v80, 0
	;; [unrolled: 1-line block ×3, first 2 shown]
	s_mul_u64 s[4:5], s[8:9], 0xa0
	s_delay_alu instid0(VALU_DEP_2) | instskip(SKIP_1) | instid1(VALU_DEP_3)
	v_mad_co_u64_u32 v[6:7], null, s11, v40, v[1:2]
	v_mad_co_u64_u32 v[7:8], null, s8, v77, 0
	;; [unrolled: 1-line block ×3, first 2 shown]
	s_clause 0x1
	global_load_b64 v[10:11], v78, s[12:13]
	global_load_b64 v[12:13], v78, s[12:13] offset:1280
	v_dual_mov_b32 v1, v6 :: v_dual_mov_b32 v6, v8
	s_delay_alu instid0(VALU_DEP_1) | instskip(NEXT) | instid1(VALU_DEP_2)
	v_lshlrev_b64_e32 v[0:1], 3, v[0:1]
	v_mad_co_u64_u32 v[14:15], null, s9, v77, v[6:7]
	v_mov_b32_e32 v3, v9
	v_mad_co_u64_u32 v[8:9], null, s9, v79, v[5:6]
	s_delay_alu instid0(VALU_DEP_4) | instskip(NEXT) | instid1(VALU_DEP_1)
	v_add_co_u32 v18, s2, s6, v0
	v_add_co_ci_u32_e64 v19, s2, s7, v1, s2
	s_delay_alu instid0(VALU_DEP_3) | instskip(SKIP_1) | instid1(VALU_DEP_2)
	v_dual_mov_b32 v5, v8 :: v_dual_mov_b32 v8, v14
	v_lshlrev_b64_e32 v[2:3], 3, v[2:3]
	v_lshlrev_b64_e32 v[4:5], 3, v[4:5]
	s_delay_alu instid0(VALU_DEP_3) | instskip(NEXT) | instid1(VALU_DEP_3)
	v_lshlrev_b64_e32 v[6:7], 3, v[7:8]
	v_add_co_u32 v0, s2, v18, v2
	s_wait_alu 0xf1ff
	s_delay_alu instid0(VALU_DEP_4) | instskip(SKIP_1) | instid1(VALU_DEP_2)
	v_add_co_ci_u32_e64 v1, s2, v19, v3, s2
	s_wait_alu 0xfffe
	v_add_co_u32 v2, s2, v0, s4
	s_wait_alu 0xf1ff
	s_delay_alu instid0(VALU_DEP_2) | instskip(SKIP_4) | instid1(VALU_DEP_2)
	v_add_co_ci_u32_e64 v3, s2, s5, v1, s2
	global_load_b64 v[0:1], v[0:1], off
	v_add_co_u32 v14, s2, v2, s4
	s_wait_alu 0xf1ff
	v_add_co_ci_u32_e64 v15, s2, s5, v3, s2
	v_add_co_u32 v8, s2, v14, s4
	s_wait_alu 0xf1ff
	s_delay_alu instid0(VALU_DEP_2)
	v_add_co_ci_u32_e64 v9, s2, s5, v15, s2
	v_add_co_u32 v4, s2, v18, v4
	s_wait_alu 0xf1ff
	v_add_co_ci_u32_e64 v5, s2, v19, v5, s2
	v_add_co_u32 v16, s2, v8, s4
	s_wait_alu 0xf1ff
	v_add_co_ci_u32_e64 v17, s2, s5, v9, s2
	global_load_b64 v[4:5], v[4:5], off
	v_add_co_u32 v6, s2, v18, v6
	s_wait_alu 0xf1ff
	v_add_co_ci_u32_e64 v7, s2, v19, v7, s2
	v_add_co_u32 v18, s2, v16, s4
	s_wait_alu 0xf1ff
	v_add_co_ci_u32_e64 v19, s2, s5, v17, s2
	global_load_b64 v[24:25], v78, s[12:13] offset:2560
	s_clause 0x1
	global_load_b64 v[6:7], v[6:7], off
	global_load_b64 v[2:3], v[2:3], off
	s_clause 0x2
	global_load_b64 v[28:29], v78, s[12:13] offset:160
	global_load_b64 v[30:31], v78, s[12:13] offset:320
	;; [unrolled: 1-line block ×3, first 2 shown]
	s_clause 0x1
	global_load_b64 v[14:15], v[14:15], off
	global_load_b64 v[8:9], v[8:9], off
	s_clause 0x3
	global_load_b64 v[34:35], v78, s[12:13] offset:640
	global_load_b64 v[36:37], v78, s[12:13] offset:800
	;; [unrolled: 1-line block ×4, first 2 shown]
	global_load_b64 v[16:17], v[16:17], off
	v_add_co_u32 v20, s2, v18, s4
	s_wait_alu 0xf1ff
	v_add_co_ci_u32_e64 v21, s2, s5, v19, s2
	s_delay_alu instid0(VALU_DEP_2) | instskip(SKIP_1) | instid1(VALU_DEP_2)
	v_add_co_u32 v22, s2, v20, s4
	s_wait_alu 0xf1ff
	v_add_co_ci_u32_e64 v23, s2, s5, v21, s2
	s_delay_alu instid0(VALU_DEP_1) | instskip(NEXT) | instid1(VALU_DEP_1)
	v_mad_co_u64_u32 v[26:27], null, 0x140, s8, v[22:23]
	v_add_co_u32 v54, s2, v26, s4
	s_wait_loadcnt 0xe
	v_mul_f32_e32 v73, v0, v11
	v_mul_f32_e32 v72, v1, v11
	s_wait_loadcnt 0xd
	s_delay_alu instid0(VALU_DEP_1)
	v_dual_fmac_f32 v72, v0, v10 :: v_dual_mul_f32 v11, v5, v13
	s_wait_loadcnt 0x9
	v_mad_co_u64_u32 v[43:44], null, 0x140, s9, v[27:28]
	s_clause 0x2
	global_load_b64 v[44:45], v78, s[12:13] offset:1440
	global_load_b64 v[46:47], v78, s[12:13] offset:1600
	;; [unrolled: 1-line block ×3, first 2 shown]
	global_load_b64 v[18:19], v[18:19], off
	s_clause 0x1
	global_load_b64 v[50:51], v78, s[12:13] offset:1920
	global_load_b64 v[52:53], v78, s[12:13] offset:2080
	global_load_b64 v[20:21], v[20:21], off
	global_load_b64 v[22:23], v[22:23], off
	v_mul_f32_e32 v75, v4, v13
	s_wait_loadcnt 0xd
	v_dual_fmac_f32 v11, v4, v12 :: v_dual_mul_f32 v4, v9, v33
	v_mov_b32_e32 v27, v43
	v_dual_mul_f32 v0, v3, v29 :: v_dual_add_nc_u32 v43, v81, v78
	s_delay_alu instid0(VALU_DEP_3) | instskip(SKIP_1) | instid1(VALU_DEP_3)
	v_fmac_f32_e32 v4, v8, v32
	s_wait_alu 0xf1ff
	v_add_co_ci_u32_e64 v55, s2, s5, v27, s2
	v_add_co_u32 v56, s2, v54, s4
	global_load_b64 v[26:27], v[26:27], off
	s_wait_alu 0xf1ff
	v_add_co_ci_u32_e64 v57, s2, s5, v55, s2
	v_add_co_u32 v58, s2, v56, s4
	global_load_b64 v[54:55], v[54:55], off
	;; [unrolled: 4-line block ×5, first 2 shown]
	s_wait_alu 0xf1ff
	v_add_co_ci_u32_e64 v67, s2, s5, v65, s2
	global_load_b64 v[64:65], v[64:65], off
	s_clause 0x1
	global_load_b64 v[68:69], v78, s[12:13] offset:2240
	global_load_b64 v[70:71], v78, s[12:13] offset:2400
	global_load_b64 v[66:67], v[66:67], off
	v_fmac_f32_e32 v0, v2, v28
	v_fma_f32 v73, v1, v10, -v73
	v_dual_mul_f32 v1, v2, v29 :: v_dual_mul_f32 v2, v15, v31
	v_mul_f32_e32 v13, v7, v25
	v_mul_f32_e32 v25, v6, v25
	v_fma_f32 v12, v5, v12, -v75
	v_mul_f32_e32 v5, v14, v31
	v_fmac_f32_e32 v2, v14, v30
	v_dual_fmac_f32 v13, v6, v24 :: v_dual_mul_f32 v6, v8, v33
	v_fma_f32 v1, v3, v28, -v1
	s_wait_loadcnt 0x11
	v_mul_f32_e32 v14, v17, v35
	ds_store_b64 v60, v[72:73]
	v_add_nc_u32_e32 v74, 0x800, v43
	v_fmac_f32_e32 v14, v16, v34
	s_wait_loadcnt 0xd
	v_mul_f32_e32 v8, v19, v37
	v_fma_f32 v3, v15, v30, -v5
	v_fma_f32 v5, v9, v32, -v6
	v_dual_mul_f32 v6, v16, v35 :: v_dual_mul_f32 v9, v18, v37
	s_wait_loadcnt 0xa
	v_mul_f32_e32 v16, v21, v39
	v_fmac_f32_e32 v8, v18, v36
	s_wait_loadcnt 0x9
	v_mul_f32_e32 v10, v22, v42
	v_fma_f32 v15, v17, v34, -v6
	v_mul_f32_e32 v6, v20, v39
	v_fma_f32 v9, v19, v36, -v9
	ds_store_2addr_b64 v43, v[0:1], v[2:3] offset0:20 offset1:40
	ds_store_2addr_b64 v43, v[4:5], v[14:15] offset0:60 offset1:80
	v_fma_f32 v17, v21, v38, -v6
	s_wait_loadcnt 0x8
	v_mul_f32_e32 v0, v27, v45
	v_mul_f32_e32 v1, v26, v45
	s_wait_loadcnt 0x7
	v_mul_f32_e32 v3, v54, v47
	v_mul_f32_e32 v2, v55, v47
	v_fmac_f32_e32 v0, v26, v44
	v_fma_f32 v1, v27, v44, -v1
	s_wait_loadcnt 0x6
	v_mul_f32_e32 v5, v56, v49
	v_fmac_f32_e32 v16, v20, v38
	v_mul_f32_e32 v4, v57, v49
	v_fmac_f32_e32 v2, v54, v46
	v_fma_f32 v3, v55, v46, -v3
	s_wait_loadcnt 0x5
	v_mul_f32_e32 v6, v58, v51
	v_fma_f32 v5, v57, v48, -v5
	s_wait_loadcnt 0x2
	v_dual_fmac_f32 v4, v56, v48 :: v_dual_mul_f32 v15, v65, v69
	v_mul_f32_e32 v18, v23, v42
	ds_store_2addr_b64 v43, v[8:9], v[16:17] offset0:100 offset1:120
	s_wait_loadcnt 0x0
	v_mul_f32_e32 v17, v67, v71
	v_fma_f32 v19, v23, v41, -v10
	v_dual_fmac_f32 v15, v64, v68 :: v_dual_fmac_f32 v18, v22, v41
	v_mul_f32_e32 v8, v59, v51
	v_mul_f32_e32 v10, v63, v53
	v_fma_f32 v9, v59, v50, -v6
	v_mul_f32_e32 v6, v62, v53
	ds_store_2addr_b64 v43, v[18:19], v[11:12] offset0:140 offset1:160
	v_mul_f32_e32 v12, v64, v69
	v_mul_f32_e32 v14, v66, v71
	v_fmac_f32_e32 v8, v58, v50
	v_fmac_f32_e32 v10, v62, v52
	v_fma_f32 v11, v63, v52, -v6
	v_fma_f32 v16, v65, v68, -v12
	v_fmac_f32_e32 v17, v66, v70
	v_fma_f32 v18, v67, v70, -v14
	v_fma_f32 v14, v7, v24, -v25
	ds_store_2addr_b64 v43, v[0:1], v[2:3] offset0:180 offset1:200
	ds_store_2addr_b64 v43, v[4:5], v[8:9] offset0:220 offset1:240
	;; [unrolled: 1-line block ×4, first 2 shown]
.LBB0_3:
	s_or_b32 exec_lo, exec_lo, s3
	s_clause 0x1
	s_load_b64 s[4:5], s[0:1], 0x20
	s_load_b64 s[2:3], s[0:1], 0x8
	v_mov_b32_e32 v4, 0
	v_mov_b32_e32 v5, 0
	global_wb scope:SCOPE_SE
	s_wait_dscnt 0x0
	s_wait_kmcnt 0x0
	s_barrier_signal -1
	s_barrier_wait -1
	global_inv scope:SCOPE_SE
                                        ; implicit-def: $vgpr22
                                        ; implicit-def: $vgpr16
                                        ; implicit-def: $vgpr12
                                        ; implicit-def: $vgpr8
                                        ; implicit-def: $vgpr36
                                        ; implicit-def: $vgpr34
                                        ; implicit-def: $vgpr26
                                        ; implicit-def: $vgpr30
	s_and_saveexec_b32 s0, vcc_lo
	s_cbranch_execz .LBB0_5
; %bb.4:
	v_lshl_add_u32 v0, v61, 3, v78
	ds_load_2addr_b64 v[4:7], v0 offset1:20
	ds_load_2addr_b64 v[28:31], v0 offset0:40 offset1:60
	ds_load_2addr_b64 v[24:27], v0 offset0:80 offset1:100
	v_add_nc_u32_e32 v1, 0x400, v0
	v_add_nc_u32_e32 v2, 0x800, v0
	ds_load_2addr_b64 v[32:35], v0 offset0:120 offset1:140
	ds_load_2addr_b64 v[20:23], v0 offset0:160 offset1:180
	;; [unrolled: 1-line block ×5, first 2 shown]
	ds_load_b64 v[36:37], v0 offset:2560
.LBB0_5:
	s_wait_alu 0xfffe
	s_or_b32 exec_lo, exec_lo, s0
	s_wait_dscnt 0x0
	v_dual_sub_f32 v38, v7, v37 :: v_dual_sub_f32 v39, v6, v36
	v_dual_add_f32 v53, v36, v6 :: v_dual_add_f32 v54, v37, v7
	v_dual_add_f32 v55, v10, v28 :: v_dual_sub_f32 v52, v28, v10
	s_delay_alu instid0(VALU_DEP_3) | instskip(SKIP_1) | instid1(VALU_DEP_3)
	v_dual_mul_f32 v59, 0xbeb8f4ab, v38 :: v_dual_mul_f32 v60, 0xbeb8f4ab, v39
	v_dual_sub_f32 v51, v29, v11 :: v_dual_add_f32 v56, v11, v29
	v_mul_f32_e32 v65, 0xbf2c7751, v52
	s_delay_alu instid0(VALU_DEP_3) | instskip(NEXT) | instid1(VALU_DEP_4)
	v_dual_fmamk_f32 v0, v53, 0x3f6eb680, v59 :: v_dual_sub_f32 v123, v31, v9
	v_fma_f32 v1, 0x3f6eb680, v54, -v60
	s_delay_alu instid0(VALU_DEP_4) | instskip(SKIP_1) | instid1(VALU_DEP_3)
	v_mul_f32_e32 v62, 0xbf2c7751, v51
	v_dual_sub_f32 v124, v30, v8 :: v_dual_sub_f32 v131, v24, v14
	v_dual_add_f32 v0, v0, v4 :: v_dual_add_f32 v1, v1, v5
	s_delay_alu instid0(VALU_DEP_3) | instskip(SKIP_1) | instid1(VALU_DEP_4)
	v_dual_fmamk_f32 v2, v55, 0x3f3d2fb0, v62 :: v_dual_add_f32 v57, v8, v30
	v_fma_f32 v3, 0x3f3d2fb0, v56, -v65
	v_dual_mul_f32 v66, 0xbf65296c, v123 :: v_dual_mul_f32 v67, 0xbf65296c, v124
	v_dual_add_f32 v58, v9, v31 :: v_dual_add_f32 v63, v14, v24
	s_delay_alu instid0(VALU_DEP_3) | instskip(SKIP_2) | instid1(VALU_DEP_4)
	v_dual_mul_f32 v72, 0xbf2c7751, v38 :: v_dual_add_f32 v1, v3, v1
	v_dual_add_f32 v0, v2, v0 :: v_dual_mul_f32 v71, 0xbf7ee86f, v131
	v_dual_sub_f32 v128, v25, v15 :: v_dual_sub_f32 v139, v26, v12
	v_fma_f32 v3, 0x3ee437d1, v58, -v67
	v_dual_sub_f32 v138, v27, v13 :: v_dual_sub_f32 v147, v32, v18
	v_add_f32_e32 v64, v15, v25
	s_delay_alu instid0(VALU_DEP_3) | instskip(SKIP_1) | instid1(VALU_DEP_4)
	v_dual_fmamk_f32 v2, v57, 0x3ee437d1, v66 :: v_dual_add_f32 v1, v3, v1
	v_dual_mul_f32 v70, 0xbf7ee86f, v128 :: v_dual_add_f32 v69, v13, v27
	v_mul_f32_e32 v75, 0xbf763a35, v138
	s_delay_alu instid0(VALU_DEP_4) | instskip(SKIP_3) | instid1(VALU_DEP_4)
	v_fma_f32 v3, 0x3dbcf732, v64, -v71
	v_dual_mul_f32 v76, 0xbf763a35, v139 :: v_dual_sub_f32 v149, v34, v16
	v_add_f32_e32 v0, v2, v0
	v_dual_mul_f32 v86, 0xbf4c4adb, v147 :: v_dual_add_f32 v87, v22, v20
	v_add_f32_e32 v1, v3, v1
	s_delay_alu instid0(VALU_DEP_4) | instskip(SKIP_3) | instid1(VALU_DEP_4)
	v_fma_f32 v3, 0xbe8c1d8e, v69, -v76
	v_dual_sub_f32 v148, v35, v17 :: v_dual_fmamk_f32 v41, v53, 0x3f3d2fb0, v72
	v_add_f32_e32 v74, v19, v33
	v_dual_fmamk_f32 v2, v63, 0x3dbcf732, v70 :: v_dual_add_f32 v73, v18, v32
	v_dual_add_f32 v68, v12, v26 :: v_dual_add_f32 v1, v3, v1
	v_dual_sub_f32 v146, v33, v19 :: v_dual_add_f32 v83, v16, v34
	v_mul_f32_e32 v89, 0xbf06c442, v148
	v_fma_f32 v3, 0xbf1a4643, v74, -v86
	v_dual_add_f32 v84, v17, v35 :: v_dual_mul_f32 v99, 0xbf4c4adb, v124
	v_dual_mul_f32 v90, 0xbf06c442, v149 :: v_dual_add_f32 v41, v41, v4
	v_dual_add_f32 v0, v2, v0 :: v_dual_mul_f32 v85, 0xbf4c4adb, v146
	s_delay_alu instid0(VALU_DEP_4) | instskip(NEXT) | instid1(VALU_DEP_3)
	v_dual_fmamk_f32 v2, v68, 0xbe8c1d8e, v75 :: v_dual_add_f32 v1, v3, v1
	v_fma_f32 v3, 0xbf59a7d5, v84, -v90
	v_mul_f32_e32 v102, 0xbf2c7751, v39
	s_delay_alu instid0(VALU_DEP_3) | instskip(SKIP_1) | instid1(VALU_DEP_4)
	v_dual_sub_f32 v155, v21, v23 :: v_dual_add_f32 v0, v2, v0
	v_mul_f32_e32 v93, 0xbf7ee86f, v51
	v_add_f32_e32 v1, v3, v1
	s_delay_alu instid0(VALU_DEP_4) | instskip(SKIP_4) | instid1(VALU_DEP_4)
	v_fma_f32 v43, 0x3f3d2fb0, v54, -v102
	v_fmamk_f32 v2, v73, 0xbf1a4643, v85
	v_mul_f32_e32 v94, 0xbf4c4adb, v123
	v_fmamk_f32 v42, v55, 0x3dbcf732, v93
	v_dual_sub_f32 v156, v20, v22 :: v_dual_mul_f32 v91, 0xbe3c28d5, v155
	v_add_f32_e32 v0, v2, v0
	v_fmamk_f32 v2, v83, 0xbf59a7d5, v89
	v_add_f32_e32 v88, v23, v21
	v_mul_f32_e32 v104, 0xbf7ee86f, v52
	v_mul_f32_e32 v98, 0x3f763a35, v146
	v_dual_mul_f32 v92, 0xbe3c28d5, v156 :: v_dual_mul_f32 v101, 0xbe3c28d5, v131
	v_dual_add_f32 v0, v2, v0 :: v_dual_mul_f32 v97, 0x3f06c442, v138
	v_add_f32_e32 v2, v42, v41
	v_add_f32_e32 v41, v43, v5
	v_fmamk_f32 v43, v57, 0xbf1a4643, v94
	v_fma_f32 v42, 0x3dbcf732, v56, -v104
	v_fma_f32 v44, 0xbf7ba420, v88, -v92
	v_mul_f32_e32 v103, 0x3f06c442, v139
	s_delay_alu instid0(VALU_DEP_4)
	v_dual_mul_f32 v105, 0x3f763a35, v147 :: v_dual_add_f32 v2, v43, v2
	v_fmamk_f32 v43, v87, 0xbf7ba420, v91
	v_fmamk_f32 v45, v73, 0xbe8c1d8e, v98
	v_dual_mul_f32 v96, 0xbe3c28d5, v128 :: v_dual_add_f32 v3, v42, v41
	v_fma_f32 v41, 0xbf1a4643, v58, -v99
	v_mul_f32_e32 v100, 0x3f65296c, v148
	v_mul_f32_e32 v118, 0xbf65296c, v39
	s_delay_alu instid0(VALU_DEP_4) | instskip(NEXT) | instid1(VALU_DEP_4)
	v_fmamk_f32 v42, v63, 0xbf7ba420, v96
	v_dual_mul_f32 v120, 0xbf4c4adb, v52 :: v_dual_add_f32 v3, v41, v3
	v_fma_f32 v41, 0xbf7ba420, v64, -v101
	v_mul_f32_e32 v114, 0xbf65296c, v38
	s_delay_alu instid0(VALU_DEP_4) | instskip(SKIP_4) | instid1(VALU_DEP_4)
	v_add_f32_e32 v2, v42, v2
	v_fmamk_f32 v42, v68, 0xbf59a7d5, v97
	v_mul_f32_e32 v95, 0x3eb8f4ab, v155
	v_dual_add_f32 v3, v41, v3 :: v_dual_mul_f32 v116, 0x3e3c28d5, v124
	v_mul_f32_e32 v117, 0x3f763a35, v131
	v_add_f32_e32 v41, v42, v2
	v_fma_f32 v42, 0xbf59a7d5, v69, -v103
	v_add_f32_e32 v2, v43, v0
	v_fmamk_f32 v43, v83, 0x3ee437d1, v100
	v_mul_f32_e32 v119, 0x3f2c7751, v139
	s_delay_alu instid0(VALU_DEP_4) | instskip(SKIP_3) | instid1(VALU_DEP_4)
	v_dual_add_f32 v41, v45, v41 :: v_dual_add_f32 v0, v42, v3
	v_fma_f32 v42, 0xbe8c1d8e, v74, -v105
	v_fma_f32 v45, 0xbf1a4643, v56, -v120
	v_add_f32_e32 v3, v44, v1
	v_add_f32_e32 v41, v43, v41
	v_fma_f32 v43, 0x3ee437d1, v54, -v118
	v_add_f32_e32 v0, v42, v0
	v_fmamk_f32 v42, v53, 0x3ee437d1, v114
	v_fmamk_f32 v44, v87, 0x3f6eb680, v95
	v_mul_f32_e32 v109, 0x3f763a35, v128
	v_add_f32_e32 v43, v43, v5
	v_mul_f32_e32 v106, 0x3f65296c, v149
	v_dual_mul_f32 v112, 0xbeb8f4ab, v146 :: v_dual_mul_f32 v121, 0xbeb8f4ab, v147
	v_dual_mul_f32 v122, 0xbf7ee86f, v149 :: v_dual_mul_f32 v133, 0xbf7ee86f, v38
	s_delay_alu instid0(VALU_DEP_3) | instskip(SKIP_3) | instid1(VALU_DEP_4)
	v_fma_f32 v1, 0x3ee437d1, v84, -v106
	v_dual_mul_f32 v134, 0x3f2c7751, v155 :: v_dual_mul_f32 v169, 0x3f2c7751, v124
	v_mul_f32_e32 v111, 0x3f2c7751, v138
	v_dual_mul_f32 v127, 0x3f763a35, v123 :: v_dual_mul_f32 v142, 0x3f763a35, v124
	v_dual_add_f32 v1, v1, v0 :: v_dual_mul_f32 v110, 0xbf4c4adb, v51
	s_delay_alu instid0(VALU_DEP_4) | instskip(SKIP_2) | instid1(VALU_DEP_4)
	v_dual_add_f32 v0, v42, v4 :: v_dual_fmamk_f32 v49, v87, 0x3f3d2fb0, v134
	v_mul_f32_e32 v144, 0xbe3c28d5, v52
	v_mul_f32_e32 v107, 0x3eb8f4ab, v156
	v_fmamk_f32 v42, v55, 0xbf1a4643, v110
	v_mul_f32_e32 v113, 0xbf7ee86f, v148
	v_dual_mul_f32 v126, 0x3eb8f4ab, v128 :: v_dual_mul_f32 v141, 0x3eb8f4ab, v131
	v_dual_mul_f32 v129, 0xbf65296c, v138 :: v_dual_mul_f32 v140, 0xbf65296c, v139
	s_delay_alu instid0(VALU_DEP_4)
	v_add_f32_e32 v42, v42, v0
	v_dual_add_f32 v0, v44, v41 :: v_dual_add_f32 v41, v45, v43
	v_fma_f32 v43, 0xbf7ba420, v58, -v116
	v_fmamk_f32 v44, v63, 0xbe8c1d8e, v109
	v_fma_f32 v45, 0x3f6eb680, v88, -v107
	v_mul_f32_e32 v143, 0xbf7ee86f, v39
	v_fma_f32 v48, 0x3f6eb680, v64, -v141
	v_add_f32_e32 v41, v43, v41
	v_fma_f32 v43, 0xbe8c1d8e, v64, -v117
	v_add_f32_e32 v1, v45, v1
	v_mul_f32_e32 v135, 0xbe3c28d5, v51
	v_fma_f32 v45, 0x3dbcf732, v54, -v143
	v_dual_mul_f32 v130, 0xbf06c442, v146 :: v_dual_mul_f32 v125, 0xbf06c442, v156
	v_add_f32_e32 v41, v43, v41
	v_fma_f32 v43, 0x3f3d2fb0, v69, -v119
	s_delay_alu instid0(VALU_DEP_4) | instskip(SKIP_2) | instid1(VALU_DEP_4)
	v_dual_add_f32 v45, v45, v5 :: v_dual_mul_f32 v132, 0x3f4c4adb, v148
	v_mul_f32_e32 v136, 0x3f4c4adb, v149
	v_dual_mul_f32 v179, 0xbf4c4adb, v38 :: v_dual_mul_f32 v150, 0xbf4c4adb, v155
	v_add_f32_e32 v41, v43, v41
	v_fma_f32 v43, 0x3f6eb680, v74, -v121
	v_dual_mul_f32 v158, 0x3f2c7751, v123 :: v_dual_mul_f32 v145, 0x3f2c7751, v156
	s_delay_alu instid0(VALU_DEP_4) | instskip(NEXT) | instid1(VALU_DEP_3)
	v_fmamk_f32 v82, v87, 0xbf1a4643, v150
	v_dual_mul_f32 v154, 0xbf65296c, v128 :: v_dual_add_f32 v41, v43, v41
	v_fma_f32 v43, 0x3dbcf732, v84, -v122
	v_mul_f32_e32 v108, 0x3e3c28d5, v123
	v_mul_f32_e32 v137, 0xbf06c442, v147
	v_mul_f32_e32 v187, 0xbf4c4adb, v39
	s_delay_alu instid0(VALU_DEP_4) | instskip(NEXT) | instid1(VALU_DEP_4)
	v_dual_mul_f32 v152, 0x3f7ee86f, v146 :: v_dual_add_f32 v43, v43, v41
	v_fmamk_f32 v46, v57, 0xbf7ba420, v108
	v_mul_f32_e32 v159, 0x3f06c442, v51
	s_delay_alu instid0(VALU_DEP_4)
	v_fma_f32 v50, 0xbf1a4643, v54, -v187
	v_mul_f32_e32 v167, 0xbe3c28d5, v139
	v_dual_mul_f32 v166, 0x3f7ee86f, v147 :: v_dual_mul_f32 v177, 0x3f7ee86f, v138
	v_add_f32_e32 v42, v46, v42
	v_fma_f32 v46, 0xbf7ba420, v56, -v144
	v_mul_f32_e32 v115, 0xbf06c442, v155
	v_dual_mul_f32 v151, 0xbeb8f4ab, v148 :: v_dual_mul_f32 v172, 0xbeb8f4ab, v149
	s_delay_alu instid0(VALU_DEP_4) | instskip(SKIP_1) | instid1(VALU_DEP_4)
	v_add_f32_e32 v42, v44, v42
	v_dual_mul_f32 v180, 0x3f763a35, v51 :: v_dual_mul_f32 v189, 0x3f763a35, v52
	v_fmamk_f32 v47, v87, 0xbf59a7d5, v115
	v_fmamk_f32 v44, v68, 0x3f3d2fb0, v111
	v_dual_mul_f32 v181, 0xbeb8f4ab, v123 :: v_dual_mul_f32 v188, 0xbeb8f4ab, v124
	v_dual_mul_f32 v186, 0xbf06c442, v131 :: v_dual_mul_f32 v195, 0xbf06c442, v38
	s_delay_alu instid0(VALU_DEP_3)
	v_add_f32_e32 v42, v44, v42
	v_fmamk_f32 v44, v73, 0x3f6eb680, v112
	v_mul_f32_e32 v184, 0x3f7ee86f, v139
	v_mul_f32_e32 v190, 0xbe3c28d5, v149
	;; [unrolled: 1-line block ×4, first 2 shown]
	v_add_f32_e32 v42, v44, v42
	v_fmamk_f32 v44, v83, 0x3dbcf732, v113
	v_fma_f32 v162, 0xbf7ba420, v84, -v190
	v_dual_mul_f32 v197, 0x3f4c4adb, v128 :: v_dual_mul_f32 v200, 0x3f4c4adb, v131
	v_mul_f32_e32 v198, 0xbeb8f4ab, v138
	s_delay_alu instid0(VALU_DEP_4) | instskip(SKIP_4) | instid1(VALU_DEP_4)
	v_add_f32_e32 v42, v44, v42
	v_fmamk_f32 v44, v53, 0x3dbcf732, v133
	v_mul_f32_e32 v183, 0x3f65296c, v155
	v_mul_f32_e32 v192, 0xbe3c28d5, v146
	;; [unrolled: 1-line block ×3, first 2 shown]
	v_dual_mul_f32 v194, 0xbf763a35, v155 :: v_dual_add_f32 v41, v44, v4
	v_fmamk_f32 v44, v55, 0xbf7ba420, v135
	v_mul_f32_e32 v206, 0xbf7ee86f, v124
	v_mul_f32_e32 v202, 0xbe3c28d5, v147
	;; [unrolled: 1-line block ×3, first 2 shown]
	global_wb scope:SCOPE_SE
	v_add_f32_e32 v41, v44, v41
	v_add_f32_e32 v44, v46, v45
	v_fma_f32 v46, 0xbe8c1d8e, v58, -v142
	v_fmamk_f32 v45, v57, 0xbe8c1d8e, v127
	s_barrier_signal -1
	s_barrier_wait -1
	global_inv scope:SCOPE_SE
	v_dual_add_f32 v44, v46, v44 :: v_dual_add_f32 v45, v45, v41
	v_fmamk_f32 v46, v63, 0x3f6eb680, v126
	v_add_f32_e32 v41, v47, v42
	v_fma_f32 v47, 0xbf59a7d5, v88, -v125
	s_delay_alu instid0(VALU_DEP_4)
	v_add_f32_e32 v44, v48, v44
	v_fma_f32 v48, 0xbf1a4643, v84, -v136
	v_add_f32_e32 v42, v46, v45
	v_fma_f32 v46, 0x3ee437d1, v69, -v140
	v_fmamk_f32 v45, v68, 0x3ee437d1, v129
	v_mul_f32_e32 v157, 0xbf763a35, v38
	v_mul_f32_e32 v185, 0xbf2c7751, v147
	s_delay_alu instid0(VALU_DEP_4) | instskip(NEXT) | instid1(VALU_DEP_4)
	v_dual_mul_f32 v205, 0xbf06c442, v39 :: v_dual_add_f32 v44, v46, v44
	v_add_f32_e32 v42, v45, v42
	v_fma_f32 v46, 0xbf59a7d5, v74, -v137
	v_fmamk_f32 v45, v73, 0xbf59a7d5, v130
	v_mul_f32_e32 v199, 0x3f65296c, v51
	v_mul_f32_e32 v201, 0xbeb8f4ab, v139
	s_delay_alu instid0(VALU_DEP_4) | instskip(NEXT) | instid1(VALU_DEP_4)
	v_dual_mul_f32 v203, 0x3f2c7751, v149 :: v_dual_add_f32 v44, v46, v44
	v_dual_add_f32 v45, v45, v42 :: v_dual_fmamk_f32 v46, v83, 0xbf1a4643, v132
	v_add_f32_e32 v42, v47, v43
	s_delay_alu instid0(VALU_DEP_3) | instskip(NEXT) | instid1(VALU_DEP_3)
	v_dual_fmamk_f32 v47, v55, 0xbf59a7d5, v159 :: v_dual_add_f32 v44, v48, v44
	v_dual_fmamk_f32 v160, v55, 0x3ee437d1, v199 :: v_dual_add_f32 v43, v46, v45
	v_fmamk_f32 v45, v53, 0xbe8c1d8e, v157
	v_mul_f32_e32 v191, 0x3f65296c, v156
	s_delay_alu instid0(VALU_DEP_2) | instskip(NEXT) | instid1(VALU_DEP_2)
	v_add_f32_e32 v45, v45, v4
	v_fma_f32 v163, 0x3ee437d1, v88, -v191
	s_delay_alu instid0(VALU_DEP_2) | instskip(SKIP_1) | instid1(VALU_DEP_1)
	v_add_f32_e32 v45, v47, v45
	v_fmamk_f32 v47, v57, 0x3f3d2fb0, v158
	v_add_f32_e32 v45, v47, v45
	v_fmamk_f32 v47, v63, 0x3ee437d1, v154
	s_delay_alu instid0(VALU_DEP_1) | instskip(NEXT) | instid1(VALU_DEP_1)
	v_dual_mul_f32 v170, 0xbf763a35, v39 :: v_dual_add_f32 v45, v47, v45
	v_fma_f32 v46, 0xbe8c1d8e, v54, -v170
	s_delay_alu instid0(VALU_DEP_1) | instskip(NEXT) | instid1(VALU_DEP_1)
	v_dual_mul_f32 v171, 0x3f06c442, v52 :: v_dual_add_f32 v46, v46, v5
	v_fma_f32 v48, 0xbf59a7d5, v56, -v171
	s_delay_alu instid0(VALU_DEP_1) | instskip(SKIP_1) | instid1(VALU_DEP_1)
	v_add_f32_e32 v46, v48, v46
	v_fma_f32 v48, 0x3f3d2fb0, v58, -v169
	v_dual_add_f32 v46, v48, v46 :: v_dual_add_f32 v43, v49, v43
	v_fma_f32 v49, 0x3f3d2fb0, v88, -v145
	s_delay_alu instid0(VALU_DEP_1) | instskip(NEXT) | instid1(VALU_DEP_1)
	v_dual_mul_f32 v153, 0xbe3c28d5, v138 :: v_dual_add_f32 v44, v49, v44
	v_fmamk_f32 v47, v68, 0xbf7ba420, v153
	v_fmamk_f32 v49, v55, 0xbe8c1d8e, v180
	s_delay_alu instid0(VALU_DEP_2) | instskip(SKIP_1) | instid1(VALU_DEP_1)
	v_add_f32_e32 v45, v47, v45
	v_fmamk_f32 v47, v73, 0x3dbcf732, v152
	v_dual_mul_f32 v168, 0xbf65296c, v131 :: v_dual_add_f32 v45, v47, v45
	s_delay_alu instid0(VALU_DEP_1) | instskip(NEXT) | instid1(VALU_DEP_1)
	v_fma_f32 v48, 0x3ee437d1, v64, -v168
	v_dual_fmamk_f32 v47, v83, 0x3f6eb680, v151 :: v_dual_add_f32 v46, v48, v46
	v_fma_f32 v48, 0xbf7ba420, v69, -v167
	s_delay_alu instid0(VALU_DEP_2) | instskip(SKIP_1) | instid1(VALU_DEP_3)
	v_add_f32_e32 v45, v47, v45
	v_fma_f32 v47, 0x3f6eb680, v84, -v172
	v_add_f32_e32 v46, v48, v46
	v_fma_f32 v48, 0x3dbcf732, v74, -v166
	s_delay_alu instid0(VALU_DEP_1) | instskip(SKIP_1) | instid1(VALU_DEP_2)
	v_add_f32_e32 v46, v48, v46
	v_fmamk_f32 v48, v53, 0xbf1a4643, v179
	v_add_f32_e32 v46, v47, v46
	s_delay_alu instid0(VALU_DEP_2) | instskip(NEXT) | instid1(VALU_DEP_1)
	v_add_f32_e32 v48, v48, v4
	v_dual_add_f32 v47, v49, v48 :: v_dual_add_f32 v48, v50, v5
	v_fma_f32 v49, 0xbe8c1d8e, v56, -v189
	s_delay_alu instid0(VALU_DEP_1) | instskip(SKIP_1) | instid1(VALU_DEP_1)
	v_add_f32_e32 v48, v49, v48
	v_fma_f32 v49, 0x3f6eb680, v58, -v188
	v_add_f32_e32 v48, v49, v48
	v_fma_f32 v49, 0xbf59a7d5, v64, -v186
	s_delay_alu instid0(VALU_DEP_1) | instskip(SKIP_1) | instid1(VALU_DEP_1)
	v_add_f32_e32 v48, v49, v48
	v_fma_f32 v49, 0x3dbcf732, v69, -v184
	v_add_f32_e32 v48, v49, v48
	v_fma_f32 v49, 0x3f3d2fb0, v74, -v185
	s_delay_alu instid0(VALU_DEP_1) | instskip(NEXT) | instid1(VALU_DEP_1)
	v_add_f32_e32 v48, v49, v48
	v_dual_fmamk_f32 v49, v53, 0xbf59a7d5, v195 :: v_dual_add_f32 v48, v162, v48
	s_delay_alu instid0(VALU_DEP_1) | instskip(SKIP_2) | instid1(VALU_DEP_3)
	v_add_f32_e32 v49, v49, v4
	v_fmamk_f32 v50, v57, 0x3f6eb680, v181
	v_fmamk_f32 v162, v87, 0x3ee437d1, v183
	v_dual_add_f32 v48, v163, v48 :: v_dual_add_f32 v49, v160, v49
	s_delay_alu instid0(VALU_DEP_3) | instskip(NEXT) | instid1(VALU_DEP_1)
	v_dual_fmamk_f32 v160, v57, 0x3dbcf732, v196 :: v_dual_add_f32 v47, v50, v47
	v_dual_fmamk_f32 v50, v63, 0xbf59a7d5, v182 :: v_dual_add_f32 v49, v160, v49
	s_delay_alu instid0(VALU_DEP_1) | instskip(SKIP_1) | instid1(VALU_DEP_2)
	v_dual_fmamk_f32 v160, v63, 0xbf1a4643, v197 :: v_dual_add_f32 v47, v50, v47
	v_fmamk_f32 v50, v68, 0x3dbcf732, v177
	v_dual_mul_f32 v178, 0xbf2c7751, v146 :: v_dual_add_f32 v49, v160, v49
	s_delay_alu instid0(VALU_DEP_2) | instskip(NEXT) | instid1(VALU_DEP_1)
	v_dual_fmamk_f32 v160, v68, 0x3f6eb680, v198 :: v_dual_add_f32 v47, v50, v47
	v_dual_fmamk_f32 v50, v73, 0x3f3d2fb0, v178 :: v_dual_add_f32 v49, v160, v49
	v_fmamk_f32 v160, v73, 0xbf7ba420, v192
	s_delay_alu instid0(VALU_DEP_2) | instskip(NEXT) | instid1(VALU_DEP_2)
	v_dual_mul_f32 v176, 0xbe3c28d5, v148 :: v_dual_add_f32 v47, v50, v47
	v_dual_add_f32 v49, v160, v49 :: v_dual_fmamk_f32 v160, v83, 0x3f3d2fb0, v193
	s_delay_alu instid0(VALU_DEP_1) | instskip(SKIP_1) | instid1(VALU_DEP_1)
	v_dual_mul_f32 v174, 0xbf4c4adb, v156 :: v_dual_add_f32 v49, v160, v49
	v_fmamk_f32 v160, v87, 0xbe8c1d8e, v194
	v_dual_fmamk_f32 v50, v83, 0xbf7ba420, v176 :: v_dual_add_f32 v49, v160, v49
	s_delay_alu instid0(VALU_DEP_1) | instskip(SKIP_3) | instid1(VALU_DEP_4)
	v_add_f32_e32 v47, v50, v47
	v_fma_f32 v50, 0xbf59a7d5, v54, -v205
	v_add_f32_e32 v45, v82, v45
	v_fma_f32 v82, 0xbf1a4643, v88, -v174
	v_add_f32_e32 v47, v162, v47
	s_delay_alu instid0(VALU_DEP_4) | instskip(NEXT) | instid1(VALU_DEP_3)
	v_dual_add_f32 v50, v50, v5 :: v_dual_mul_f32 v207, 0x3f65296c, v52
	v_add_f32_e32 v46, v82, v46
	v_mul_lo_u16 v82, v80, 17
	s_delay_alu instid0(VALU_DEP_3) | instskip(NEXT) | instid1(VALU_DEP_1)
	v_fma_f32 v161, 0x3ee437d1, v56, -v207
	v_add_f32_e32 v50, v161, v50
	v_fma_f32 v161, 0x3dbcf732, v58, -v206
	s_delay_alu instid0(VALU_DEP_1) | instskip(SKIP_1) | instid1(VALU_DEP_1)
	v_add_f32_e32 v50, v161, v50
	v_fma_f32 v161, 0xbf1a4643, v64, -v200
	v_add_f32_e32 v50, v161, v50
	v_fma_f32 v161, 0x3f6eb680, v69, -v201
	s_delay_alu instid0(VALU_DEP_1) | instskip(SKIP_1) | instid1(VALU_DEP_1)
	v_add_f32_e32 v50, v161, v50
	;; [unrolled: 5-line block ×3, first 2 shown]
	v_fma_f32 v161, 0xbe8c1d8e, v88, -v204
	v_add_f32_e32 v50, v161, v50
	s_and_saveexec_b32 s0, vcc_lo
	s_cbranch_execz .LBB0_7
; %bb.6:
	v_dual_mul_f32 v160, 0xbe3c28d5, v39 :: v_dual_mul_f32 v161, 0xbe3c28d5, v38
	v_dual_mul_f32 v163, 0x3eb8f4ab, v52 :: v_dual_mul_f32 v162, 0x3eb8f4ab, v51
	v_mul_f32_e32 v149, 0xbf763a35, v149
	v_dual_mul_f32 v164, 0xbf06c442, v124 :: v_dual_mul_f32 v123, 0xbf06c442, v123
	s_delay_alu instid0(VALU_DEP_4) | instskip(SKIP_3) | instid1(VALU_DEP_4)
	v_fma_f32 v39, 0xbf7ba420, v53, -v161
	v_fmamk_f32 v38, v54, 0xbf7ba420, v160
	v_fma_f32 v52, 0x3f6eb680, v55, -v162
	v_dual_mul_f32 v165, 0x3f2c7751, v131 :: v_dual_mul_f32 v124, 0x3f2c7751, v128
	v_add_f32_e32 v39, v39, v4
	s_delay_alu instid0(VALU_DEP_4)
	v_dual_mul_f32 v175, 0x3f6eb680, v54 :: v_dual_add_f32 v38, v38, v5
	v_dual_mul_f32 v139, 0xbf4c4adb, v139 :: v_dual_mul_f32 v128, 0xbf4c4adb, v138
	v_mul_f32_e32 v138, 0xbf763a35, v148
	v_fmamk_f32 v210, v84, 0xbe8c1d8e, v149
	v_fmamk_f32 v51, v56, 0x3f6eb680, v163
	v_mul_f32_e32 v173, 0x3f6eb680, v53
	v_dual_mul_f32 v208, 0x3f3d2fb0, v53 :: v_dual_add_f32 v39, v52, v39
	v_fma_f32 v52, 0xbf59a7d5, v57, -v123
	s_delay_alu instid0(VALU_DEP_4)
	v_dual_add_f32 v38, v51, v38 :: v_dual_fmamk_f32 v51, v58, 0xbf59a7d5, v164
	v_mul_f32_e32 v131, 0x3f65296c, v146
	v_mul_f32_e32 v146, 0xbf59a7d5, v54
	v_fmac_f32_e32 v161, 0xbf7ba420, v53
	v_mul_f32_e32 v148, 0x3f7ee86f, v156
	v_dual_add_f32 v38, v51, v38 :: v_dual_fmamk_f32 v51, v64, 0x3f3d2fb0, v165
	v_add_f32_e32 v39, v52, v39
	v_fma_f32 v52, 0x3f3d2fb0, v63, -v124
	v_fma_f32 v156, 0xbe8c1d8e, v83, -v138
	v_dual_add_f32 v205, v205, v146 :: v_dual_mul_f32 v146, 0x3f7ee86f, v155
	s_delay_alu instid0(VALU_DEP_3) | instskip(SKIP_1) | instid1(VALU_DEP_3)
	v_dual_add_f32 v38, v51, v38 :: v_dual_add_f32 v39, v52, v39
	v_fma_f32 v52, 0xbf1a4643, v68, -v128
	v_add_f32_e32 v155, v205, v5
	v_fmamk_f32 v205, v88, 0x3dbcf732, v148
	v_dual_add_f32 v7, v7, v5 :: v_dual_sub_f32 v72, v208, v72
	s_delay_alu instid0(VALU_DEP_4)
	v_add_f32_e32 v39, v52, v39
	v_fma_f32 v52, 0x3ee437d1, v73, -v131
	v_add_f32_e32 v6, v6, v4
	v_fmac_f32_e32 v162, 0x3f6eb680, v55
	v_add_f32_e32 v72, v72, v4
	v_fmac_f32_e32 v124, 0x3f3d2fb0, v63
	v_add_f32_e32 v39, v52, v39
	v_fmamk_f32 v51, v69, 0xbf1a4643, v139
	v_mul_f32_e32 v52, 0x3dbcf732, v58
	v_add_f32_e32 v6, v28, v6
	v_fmac_f32_e32 v128, 0xbf1a4643, v68
	v_add_f32_e32 v156, v156, v39
	v_dual_mul_f32 v147, 0x3f65296c, v147 :: v_dual_add_f32 v38, v51, v38
	v_add_f32_e32 v52, v206, v52
	v_mul_f32_e32 v206, 0x3dbcf732, v55
	v_add_f32_e32 v6, v30, v6
	s_delay_alu instid0(VALU_DEP_4)
	v_fmamk_f32 v51, v74, 0x3ee437d1, v147
	v_add_f32_e32 v7, v29, v7
	v_fmac_f32_e32 v131, 0x3ee437d1, v73
	v_fmac_f32_e32 v138, 0xbe8c1d8e, v83
	v_add_f32_e32 v6, v24, v6
	v_dual_add_f32 v38, v51, v38 :: v_dual_mul_f32 v51, 0x3ee437d1, v56
	s_delay_alu instid0(VALU_DEP_2) | instskip(NEXT) | instid1(VALU_DEP_2)
	v_dual_add_f32 v7, v31, v7 :: v_dual_add_f32 v6, v26, v6
	v_dual_add_f32 v51, v207, v51 :: v_dual_add_f32 v38, v210, v38
	v_fma_f32 v207, 0x3dbcf732, v87, -v146
	v_mul_f32_e32 v209, 0x3f3d2fb0, v54
	v_mul_f32_e32 v210, 0x3ee437d1, v53
	v_add_f32_e32 v6, v32, v6
	s_delay_alu instid0(VALU_DEP_4) | instskip(SKIP_1) | instid1(VALU_DEP_4)
	v_dual_add_f32 v39, v205, v38 :: v_dual_add_f32 v38, v207, v156
	v_dual_mul_f32 v156, 0xbf1a4643, v64 :: v_dual_add_f32 v51, v51, v155
	v_sub_f32_e32 v114, v210, v114
	v_dual_add_f32 v102, v102, v209 :: v_dual_add_f32 v7, v25, v7
	v_add_f32_e32 v6, v34, v6
	s_delay_alu instid0(VALU_DEP_4)
	v_add_f32_e32 v156, v200, v156
	v_add_f32_e32 v51, v52, v51
	v_mul_f32_e32 v52, 0x3ee437d1, v55
	v_mul_f32_e32 v155, 0xbf59a7d5, v53
	;; [unrolled: 1-line block ×4, first 2 shown]
	v_add_f32_e32 v51, v156, v51
	v_sub_f32_e32 v52, v52, v199
	v_dual_mul_f32 v156, 0x3dbcf732, v57 :: v_dual_sub_f32 v155, v155, v195
	v_add_f32_e32 v200, v201, v200
	v_dual_add_f32 v118, v118, v205 :: v_dual_mul_f32 v205, 0x3f3d2fb0, v87
	s_delay_alu instid0(VALU_DEP_3) | instskip(NEXT) | instid1(VALU_DEP_4)
	v_sub_f32_e32 v156, v156, v196
	v_add_f32_e32 v155, v155, v4
	s_delay_alu instid0(VALU_DEP_4) | instskip(SKIP_4) | instid1(VALU_DEP_4)
	v_add_f32_e32 v51, v200, v51
	v_mul_f32_e32 v200, 0xbf1a4643, v63
	v_mul_f32_e32 v195, 0x3dbcf732, v53
	;; [unrolled: 1-line block ×3, first 2 shown]
	v_dual_add_f32 v52, v52, v155 :: v_dual_mul_f32 v199, 0x3dbcf732, v54
	v_dual_sub_f32 v197, v200, v197 :: v_dual_mul_f32 v200, 0xbf1a4643, v54
	s_delay_alu instid0(VALU_DEP_3) | instskip(NEXT) | instid1(VALU_DEP_3)
	v_add_f32_e32 v170, v170, v196
	v_dual_add_f32 v52, v156, v52 :: v_dual_mul_f32 v155, 0xbf7ba420, v74
	v_mul_f32_e32 v156, 0x3f3d2fb0, v84
	v_mul_f32_e32 v201, 0xbe8c1d8e, v53
	v_add_f32_e32 v187, v187, v200
	s_delay_alu instid0(VALU_DEP_4) | instskip(SKIP_3) | instid1(VALU_DEP_4)
	v_dual_add_f32 v52, v197, v52 :: v_dual_add_f32 v155, v202, v155
	v_mul_f32_e32 v197, 0xbe8c1d8e, v88
	v_add_f32_e32 v156, v203, v156
	v_mul_f32_e32 v202, 0xbf1a4643, v53
	v_dual_mul_f32 v200, 0x3dbcf732, v56 :: v_dual_add_f32 v51, v155, v51
	v_mul_f32_e32 v155, 0x3f6eb680, v68
	s_delay_alu instid0(VALU_DEP_3) | instskip(NEXT) | instid1(VALU_DEP_3)
	v_dual_mul_f32 v196, 0x3f3d2fb0, v58 :: v_dual_sub_f32 v179, v202, v179
	v_dual_add_f32 v170, v170, v5 :: v_dual_add_f32 v51, v156, v51
	s_delay_alu instid0(VALU_DEP_3) | instskip(SKIP_1) | instid1(VALU_DEP_4)
	v_sub_f32_e32 v155, v155, v198
	v_dual_mul_f32 v203, 0x3f3d2fb0, v55 :: v_dual_add_f32 v156, v204, v197
	v_add_f32_e32 v179, v179, v4
	v_mul_f32_e32 v204, 0xbf59a7d5, v56
	s_delay_alu instid0(VALU_DEP_4) | instskip(SKIP_1) | instid1(VALU_DEP_3)
	v_dual_add_f32 v52, v155, v52 :: v_dual_mul_f32 v197, 0xbf7ba420, v73
	v_mul_f32_e32 v155, 0xbe8c1d8e, v56
	v_dual_mul_f32 v202, 0x3dbcf732, v63 :: v_dual_add_f32 v171, v171, v204
	v_dual_add_f32 v169, v169, v196 :: v_dual_mul_f32 v204, 0x3ee437d1, v63
	s_delay_alu instid0(VALU_DEP_4) | instskip(NEXT) | instid1(VALU_DEP_3)
	v_dual_sub_f32 v192, v197, v192 :: v_dual_mul_f32 v197, 0x3f3d2fb0, v83
	v_dual_add_f32 v170, v171, v170 :: v_dual_sub_f32 v157, v201, v157
	s_delay_alu instid0(VALU_DEP_2) | instskip(NEXT) | instid1(VALU_DEP_3)
	v_dual_mul_f32 v171, 0xbf7ba420, v83 :: v_dual_add_f32 v52, v192, v52
	v_dual_sub_f32 v193, v197, v193 :: v_dual_mul_f32 v192, 0x3f6eb680, v58
	s_delay_alu instid0(VALU_DEP_3) | instskip(SKIP_1) | instid1(VALU_DEP_3)
	v_dual_add_f32 v169, v169, v170 :: v_dual_mul_f32 v170, 0x3ee437d1, v87
	v_mul_f32_e32 v196, 0xbf7ba420, v64
	v_add_f32_e32 v193, v193, v52
	v_mul_f32_e32 v52, 0xbf59a7d5, v64
	v_add_f32_e32 v188, v188, v192
	v_dual_mul_f32 v192, 0xbf7ba420, v55 :: v_dual_add_f32 v187, v187, v5
	v_sub_f32_e32 v170, v170, v183
	s_delay_alu instid0(VALU_DEP_4)
	v_add_f32_e32 v186, v186, v52
	v_add_f32_e32 v52, v156, v51
	v_mul_f32_e32 v156, 0xbe8c1d8e, v55
	v_add_f32_e32 v155, v189, v155
	v_mul_f32_e32 v189, 0xbf1a4643, v55
	v_dual_add_f32 v143, v143, v199 :: v_dual_sub_f32 v154, v204, v154
	s_delay_alu instid0(VALU_DEP_3) | instskip(SKIP_1) | instid1(VALU_DEP_3)
	v_dual_sub_f32 v156, v156, v180 :: v_dual_add_f32 v155, v155, v187
	v_mul_f32_e32 v180, 0xbf1a4643, v57
	v_add_f32_e32 v143, v143, v5
	v_sub_f32_e32 v135, v192, v135
	s_delay_alu instid0(VALU_DEP_4) | instskip(SKIP_3) | instid1(VALU_DEP_4)
	v_dual_add_f32 v156, v156, v179 :: v_dual_mul_f32 v179, 0xbf7ba420, v84
	v_mul_f32_e32 v187, 0xbe8c1d8e, v87
	v_add_f32_e32 v155, v188, v155
	v_mul_f32_e32 v188, 0xbf59a7d5, v55
	v_dual_mul_f32 v192, 0xbf1a4643, v84 :: v_dual_add_f32 v179, v190, v179
	s_delay_alu instid0(VALU_DEP_4) | instskip(NEXT) | instid1(VALU_DEP_4)
	v_sub_f32_e32 v187, v187, v194
	v_dual_add_f32 v155, v186, v155 :: v_dual_mul_f32 v186, 0x3ee437d1, v57
	s_delay_alu instid0(VALU_DEP_4) | instskip(NEXT) | instid1(VALU_DEP_3)
	v_dual_sub_f32 v159, v188, v159 :: v_dual_mul_f32 v194, 0xbf7ba420, v56
	v_add_f32_e32 v51, v187, v193
	v_mul_f32_e32 v187, 0x3dbcf732, v69
	v_mul_f32_e32 v197, 0xbf1a4643, v56
	;; [unrolled: 1-line block ×3, first 2 shown]
	v_add_f32_e32 v144, v144, v194
	v_mul_f32_e32 v190, 0xbf7ba420, v58
	v_dual_add_f32 v184, v184, v187 :: v_dual_mul_f32 v187, 0x3f3d2fb0, v74
	v_mul_f32_e32 v204, 0xbf7ba420, v87
	s_delay_alu instid0(VALU_DEP_4) | instskip(NEXT) | instid1(VALU_DEP_3)
	v_dual_add_f32 v143, v144, v143 :: v_dual_mul_f32 v144, 0x3dbcf732, v73
	v_dual_add_f32 v155, v184, v155 :: v_dual_mul_f32 v184, 0x3f6eb680, v57
	s_delay_alu instid0(VALU_DEP_4) | instskip(NEXT) | instid1(VALU_DEP_3)
	v_add_f32_e32 v185, v185, v187
	v_dual_mul_f32 v187, 0xbf1a4643, v58 :: v_dual_sub_f32 v144, v144, v152
	s_delay_alu instid0(VALU_DEP_3) | instskip(SKIP_3) | instid1(VALU_DEP_4)
	v_dual_mul_f32 v152, 0xbf59a7d5, v83 :: v_dual_sub_f32 v181, v184, v181
	v_add_f32_e32 v120, v120, v197
	v_add_f32_e32 v118, v118, v5
	v_mul_f32_e32 v201, 0xbe8c1d8e, v73
	v_dual_sub_f32 v133, v195, v133 :: v_dual_add_f32 v156, v181, v156
	s_delay_alu instid0(VALU_DEP_3) | instskip(SKIP_2) | instid1(VALU_DEP_3)
	v_dual_mul_f32 v181, 0x3ee437d1, v88 :: v_dual_add_f32 v120, v120, v118
	v_add_f32_e32 v116, v116, v190
	v_mul_f32_e32 v190, 0x3f3d2fb0, v88
	v_dual_add_f32 v104, v104, v200 :: v_dual_add_f32 v181, v191, v181
	v_mul_f32_e32 v191, 0x3dbcf732, v68
	s_delay_alu instid0(VALU_DEP_4) | instskip(SKIP_2) | instid1(VALU_DEP_4)
	v_add_f32_e32 v116, v116, v120
	v_add_f32_e32 v120, v136, v192
	;; [unrolled: 1-line block ×3, first 2 shown]
	v_dual_sub_f32 v110, v189, v110 :: v_dual_sub_f32 v177, v191, v177
	v_mul_f32_e32 v191, 0x3f3d2fb0, v73
	v_add_f32_e32 v155, v185, v155
	v_dual_mul_f32 v185, 0xbf59a7d5, v63 :: v_dual_add_f32 v102, v102, v5
	v_mul_f32_e32 v184, 0xbf7ba420, v57
	s_delay_alu instid0(VALU_DEP_4) | instskip(NEXT) | instid1(VALU_DEP_3)
	v_sub_f32_e32 v178, v191, v178
	v_dual_add_f32 v155, v179, v155 :: v_dual_sub_f32 v182, v185, v182
	v_mul_f32_e32 v193, 0x3ee437d1, v58
	v_mul_f32_e32 v179, 0xbe8c1d8e, v58
	v_add_f32_e32 v110, v110, v114
	v_dual_add_f32 v102, v104, v102 :: v_dual_add_f32 v99, v99, v187
	v_add_f32_e32 v156, v182, v156
	v_mul_f32_e32 v182, 0x3f3d2fb0, v57
	v_dual_mul_f32 v191, 0xbf7ba420, v63 :: v_dual_sub_f32 v108, v184, v108
	s_delay_alu instid0(VALU_DEP_3) | instskip(NEXT) | instid1(VALU_DEP_3)
	v_dual_add_f32 v99, v99, v102 :: v_dual_add_f32 v156, v177, v156
	v_sub_f32_e32 v158, v182, v158
	v_mul_f32_e32 v182, 0x3ee437d1, v68
	v_add_f32_e32 v157, v157, v4
	s_delay_alu instid0(VALU_DEP_4) | instskip(SKIP_1) | instid1(VALU_DEP_3)
	v_dual_mul_f32 v185, 0xbe8c1d8e, v57 :: v_dual_add_f32 v156, v178, v156
	v_mul_f32_e32 v178, 0x3ee437d1, v64
	v_dual_add_f32 v104, v108, v110 :: v_dual_add_f32 v157, v159, v157
	v_mul_f32_e32 v159, 0xbf1a4643, v88
	v_mul_f32_e32 v194, 0xbe8c1d8e, v74
	s_delay_alu instid0(VALU_DEP_4) | instskip(SKIP_1) | instid1(VALU_DEP_4)
	v_add_f32_e32 v168, v168, v178
	v_mul_f32_e32 v178, 0xbe8c1d8e, v64
	v_dual_sub_f32 v62, v203, v62 :: v_dual_add_f32 v159, v174, v159
	v_mul_f32_e32 v174, 0xbf7ba420, v68
	v_dual_sub_f32 v171, v171, v176 :: v_dual_mul_f32 v176, 0xbe8c1d8e, v63
	v_add_f32_e32 v142, v142, v179
	v_add_f32_e32 v157, v158, v157
	s_delay_alu instid0(VALU_DEP_3) | instskip(SKIP_2) | instid1(VALU_DEP_4)
	v_dual_mul_f32 v158, 0xbf1a4643, v73 :: v_dual_add_f32 v171, v171, v156
	v_mul_f32_e32 v156, 0xbf7ba420, v69
	v_sub_f32_e32 v153, v174, v153
	v_add_f32_e32 v154, v154, v157
	v_add_f32_e32 v142, v142, v143
	v_mul_f32_e32 v143, 0x3f6eb680, v83
	v_dual_add_f32 v167, v167, v156 :: v_dual_add_f32 v156, v181, v155
	v_dual_add_f32 v155, v170, v171 :: v_dual_mul_f32 v170, 0xbe8c1d8e, v68
	v_dual_mul_f32 v177, 0x3dbcf732, v64 :: v_dual_add_f32 v168, v168, v169
	v_mul_f32_e32 v181, 0xbf59a7d5, v68
	v_add_f32_e32 v153, v153, v154
	v_mul_f32_e32 v157, 0x3f6eb680, v73
	v_sub_f32_e32 v143, v143, v151
	v_add_f32_e32 v167, v167, v168
	v_mul_f32_e32 v171, 0x3dbcf732, v74
	v_dual_mul_f32 v169, 0x3f6eb680, v64 :: v_dual_add_f32 v144, v144, v153
	v_mul_f32_e32 v153, 0x3ee437d1, v83
	s_delay_alu instid0(VALU_DEP_3) | instskip(SKIP_1) | instid1(VALU_DEP_4)
	v_dual_add_f32 v117, v117, v178 :: v_dual_add_f32 v166, v166, v171
	v_mul_f32_e32 v171, 0x3f6eb680, v84
	v_dual_add_f32 v141, v141, v169 :: v_dual_mul_f32 v154, 0xbf59a7d5, v74
	s_delay_alu instid0(VALU_DEP_3) | instskip(NEXT) | instid1(VALU_DEP_4)
	v_dual_mul_f32 v195, 0xbf1a4643, v83 :: v_dual_add_f32 v116, v117, v116
	v_add_f32_e32 v166, v166, v167
	s_delay_alu instid0(VALU_DEP_4) | instskip(SKIP_3) | instid1(VALU_DEP_4)
	v_add_f32_e32 v171, v172, v171
	v_mul_f32_e32 v183, 0x3f6eb680, v63
	v_mul_f32_e32 v167, 0x3f3d2fb0, v68
	v_add_f32_e32 v141, v141, v142
	v_dual_sub_f32 v127, v185, v127 :: v_dual_add_f32 v166, v171, v166
	v_mul_f32_e32 v171, 0x3ee437d1, v69
	v_mul_f32_e32 v199, 0xbf1a4643, v74
	v_dual_sub_f32 v126, v183, v126 :: v_dual_add_f32 v133, v133, v4
	v_mul_f32_e32 v172, 0x3f3d2fb0, v69
	s_delay_alu instid0(VALU_DEP_4) | instskip(SKIP_1) | instid1(VALU_DEP_4)
	v_dual_add_f32 v140, v140, v171 :: v_dual_mul_f32 v171, 0x3dbcf732, v84
	v_mul_f32_e32 v185, 0xbf59a7d5, v87
	v_add_f32_e32 v133, v135, v133
	v_add_f32_e32 v137, v137, v154
	v_dual_add_f32 v143, v143, v144 :: v_dual_mul_f32 v144, 0xbf1a4643, v87
	v_dual_mul_f32 v169, 0xbf59a7d5, v84 :: v_dual_add_f32 v140, v140, v141
	s_delay_alu instid0(VALU_DEP_4) | instskip(SKIP_1) | instid1(VALU_DEP_2)
	v_dual_add_f32 v127, v127, v133 :: v_dual_mul_f32 v174, 0x3f6eb680, v74
	v_dual_mul_f32 v179, 0xbf59a7d5, v73 :: v_dual_mul_f32 v154, 0xbf59a7d5, v88
	v_dual_add_f32 v133, v137, v140 :: v_dual_add_f32 v126, v126, v127
	v_sub_f32_e32 v127, v182, v129
	v_add_f32_e32 v117, v119, v172
	v_mul_f32_e32 v197, 0xbf7ba420, v88
	v_mul_f32_e32 v141, 0x3f6eb680, v87
	v_dual_add_f32 v119, v120, v133 :: v_dual_sub_f32 v102, v167, v111
	v_add_f32_e32 v120, v127, v126
	v_sub_f32_e32 v126, v179, v130
	v_add_f32_e32 v127, v145, v190
	v_add_f32_e32 v130, v117, v116
	;; [unrolled: 1-line block ×3, first 2 shown]
	v_mul_f32_e32 v135, 0x3f6eb680, v88
	v_sub_f32_e32 v93, v206, v93
	v_dual_sub_f32 v129, v144, v150 :: v_dual_add_f32 v116, v127, v119
	s_delay_alu instid0(VALU_DEP_4) | instskip(SKIP_4) | instid1(VALU_DEP_4)
	v_add_f32_e32 v119, v121, v130
	v_dual_add_f32 v121, v122, v171 :: v_dual_sub_f32 v108, v176, v109
	v_sub_f32_e32 v122, v205, v134
	v_add_f32_e32 v72, v93, v72
	v_add_f32_e32 v117, v129, v143
	v_add_f32_e32 v119, v121, v119
	v_sub_f32_e32 v93, v180, v94
	v_add_f32_e32 v94, v108, v104
	v_dual_mul_f32 v142, 0x3dbcf732, v83 :: v_dual_add_f32 v121, v125, v154
	v_add_f32_e32 v101, v101, v196
	s_delay_alu instid0(VALU_DEP_4) | instskip(NEXT) | instid1(VALU_DEP_4)
	v_add_f32_e32 v72, v93, v72
	v_dual_add_f32 v94, v102, v94 :: v_dual_sub_f32 v93, v191, v96
	v_sub_f32_e32 v96, v157, v112
	s_delay_alu instid0(VALU_DEP_4) | instskip(SKIP_2) | instid1(VALU_DEP_4)
	v_add_f32_e32 v99, v101, v99
	v_dual_mul_f32 v151, 0x3ee437d1, v84 :: v_dual_add_f32 v118, v159, v166
	v_sub_f32_e32 v100, v153, v100
	v_add_f32_e32 v94, v96, v94
	v_dual_sub_f32 v96, v142, v113 :: v_dual_add_f32 v101, v103, v188
	v_dual_sub_f32 v95, v141, v95 :: v_dual_mul_f32 v198, 0x3f3d2fb0, v56
	v_add_f32_e32 v26, v86, v199
	s_delay_alu instid0(VALU_DEP_3)
	v_add_f32_e32 v96, v96, v94
	v_add_f32_e32 v94, v121, v119
	;; [unrolled: 1-line block ×3, first 2 shown]
	v_sub_f32_e32 v93, v181, v97
	v_add_f32_e32 v65, v65, v198
	v_sub_f32_e32 v59, v173, v59
	v_sub_f32_e32 v25, v202, v70
	s_delay_alu instid0(VALU_DEP_4) | instskip(SKIP_4) | instid1(VALU_DEP_4)
	v_dual_add_f32 v29, v67, v193 :: v_dual_add_f32 v72, v93, v72
	v_sub_f32_e32 v93, v201, v98
	v_sub_f32_e32 v98, v185, v115
	v_dual_mul_f32 v168, 0xbe8c1d8e, v69 :: v_dual_add_f32 v7, v27, v7
	v_add_f32_e32 v6, v20, v6
	v_add_f32_e32 v72, v93, v72
	;; [unrolled: 1-line block ×7, first 2 shown]
	v_fmac_f32_e32 v146, 0x3dbcf732, v87
	v_add_f32_e32 v97, v101, v99
	v_add_f32_e32 v99, v106, v151
	;; [unrolled: 1-line block ×3, first 2 shown]
	v_dual_add_f32 v16, v16, v22 :: v_dual_add_f32 v7, v33, v7
	s_delay_alu instid0(VALU_DEP_3) | instskip(NEXT) | instid1(VALU_DEP_3)
	v_dual_add_f32 v120, v126, v120 :: v_dual_add_f32 v97, v99, v97
	v_dual_add_f32 v99, v107, v135 :: v_dual_add_f32 v96, v101, v5
	s_delay_alu instid0(VALU_DEP_3) | instskip(SKIP_1) | instid1(VALU_DEP_3)
	v_dual_add_f32 v16, v18, v16 :: v_dual_add_f32 v7, v35, v7
	v_sub_f32_e32 v126, v195, v132
	v_dual_add_f32 v60, v99, v97 :: v_dual_add_f32 v65, v65, v96
	v_add_f32_e32 v59, v59, v4
	v_add_f32_e32 v4, v161, v4
	v_dual_add_f32 v7, v21, v7 :: v_dual_add_f32 v12, v12, v16
	s_delay_alu instid0(VALU_DEP_4)
	v_add_f32_e32 v28, v29, v65
	v_add_f32_e32 v29, v71, v177
	;; [unrolled: 1-line block ×3, first 2 shown]
	v_sub_f32_e32 v62, v186, v66
	v_dual_add_f32 v4, v162, v4 :: v_dual_add_f32 v23, v23, v7
	v_add_f32_e32 v12, v14, v12
	v_add_f32_e32 v28, v29, v28
	;; [unrolled: 1-line block ×5, first 2 shown]
	v_fmac_f32_e32 v123, 0xbf59a7d5, v57
	v_sub_f32_e32 v21, v152, v89
	v_add_f32_e32 v27, v29, v28
	v_add_f32_e32 v24, v25, v31
	;; [unrolled: 1-line block ×3, first 2 shown]
	v_dual_add_f32 v4, v123, v4 :: v_dual_sub_f32 v25, v170, v75
	s_delay_alu instid0(VALU_DEP_4) | instskip(SKIP_1) | instid1(VALU_DEP_3)
	v_add_f32_e32 v26, v26, v27
	v_add_f32_e32 v27, v90, v169
	v_dual_add_f32 v17, v17, v23 :: v_dual_add_f32 v4, v124, v4
	s_delay_alu instid0(VALU_DEP_4) | instskip(SKIP_1) | instid1(VALU_DEP_3)
	v_dual_add_f32 v24, v25, v24 :: v_dual_sub_f32 v25, v158, v85
	v_fma_f32 v23, 0xbf7ba420, v54, -v160
	v_dual_add_f32 v17, v19, v17 :: v_dual_add_f32 v4, v128, v4
	v_fma_f32 v19, 0x3f6eb680, v56, -v163
	s_delay_alu instid0(VALU_DEP_4) | instskip(SKIP_2) | instid1(VALU_DEP_3)
	v_dual_add_f32 v24, v25, v24 :: v_dual_add_f32 v25, v27, v26
	v_add_f32_e32 v26, v92, v197
	v_dual_add_f32 v5, v23, v5 :: v_dual_add_f32 v8, v10, v8
	v_dual_add_f32 v20, v21, v24 :: v_dual_sub_f32 v21, v204, v91
	s_delay_alu instid0(VALU_DEP_3) | instskip(SKIP_1) | instid1(VALU_DEP_4)
	v_add_f32_e32 v7, v26, v25
	v_add_f32_e32 v13, v13, v17
	;; [unrolled: 1-line block ×3, first 2 shown]
	v_fma_f32 v17, 0xbf59a7d5, v58, -v164
	v_fma_f32 v12, 0x3ee437d1, v74, -v147
	;; [unrolled: 1-line block ×3, first 2 shown]
	v_add_f32_e32 v13, v15, v13
	v_fma_f32 v15, 0x3f3d2fb0, v64, -v165
	v_dual_add_f32 v5, v17, v5 :: v_dual_add_f32 v120, v126, v120
	v_add_f32_e32 v6, v21, v20
	s_delay_alu instid0(VALU_DEP_4) | instskip(SKIP_1) | instid1(VALU_DEP_4)
	v_add_f32_e32 v9, v9, v13
	v_fma_f32 v13, 0xbf1a4643, v69, -v139
	v_add_f32_e32 v5, v15, v5
	v_add_f32_e32 v115, v122, v120
	s_delay_alu instid0(VALU_DEP_4) | instskip(NEXT) | instid1(VALU_DEP_3)
	v_add_f32_e32 v9, v11, v9
	v_add_f32_e32 v11, v13, v5
	s_delay_alu instid0(VALU_DEP_2) | instskip(NEXT) | instid1(VALU_DEP_2)
	v_add_f32_e32 v5, v37, v9
	v_add_f32_e32 v9, v12, v11
	;; [unrolled: 1-line block ×4, first 2 shown]
	s_delay_alu instid0(VALU_DEP_3) | instskip(SKIP_1) | instid1(VALU_DEP_4)
	v_dual_add_f32 v9, v10, v9 :: v_dual_and_b32 v8, 0xffff, v82
	v_fma_f32 v10, 0x3dbcf732, v88, -v148
	v_add_f32_e32 v11, v138, v11
	s_delay_alu instid0(VALU_DEP_3) | instskip(NEXT) | instid1(VALU_DEP_3)
	v_add_lshl_u32 v12, v61, v8, 3
	v_add_f32_e32 v9, v10, v9
	s_delay_alu instid0(VALU_DEP_3)
	v_add_f32_e32 v8, v146, v11
	ds_store_2addr_b64 v12, v[4:5], v[6:7] offset1:1
	ds_store_2addr_b64 v12, v[59:60], v[93:94] offset0:2 offset1:3
	ds_store_2addr_b64 v12, v[115:116], v[117:118] offset0:4 offset1:5
	;; [unrolled: 1-line block ×7, first 2 shown]
	ds_store_b64 v12, v[2:3] offset:128
.LBB0_7:
	s_wait_alu 0xfffe
	s_or_b32 exec_lo, exec_lo, s0
	v_add_co_u32 v4, s0, 0xffffffef, v80
	s_wait_alu 0xf1ff
	v_add_co_ci_u32_e64 v5, null, 0, -1, s0
	v_add_nc_u16 v6, v80, 34
	v_cmp_gt_u16_e64 s0, 17, v80
	v_add_nc_u16 v7, v80, 0x44
	s_load_b128 s[4:7], s[4:5], 0x0
	global_wb scope:SCOPE_SE
	s_wait_dscnt 0x0
	s_wait_kmcnt 0x0
	s_barrier_signal -1
	v_cndmask_b32_e64 v25, v5, 0, s0
	v_and_b32_e32 v5, 0xff, v6
	v_cndmask_b32_e64 v24, v4, v80, s0
	s_barrier_wait -1
	global_inv scope:SCOPE_SE
	v_add_nc_u16 v9, v80, 0x66
	v_mul_lo_u16 v11, 0xf1, v5
	v_lshlrev_b64_e32 v[4:5], 3, v[24:25]
	v_add_nc_u16 v10, v80, 0x88
	v_add_lshl_u32 v84, v61, v80, 3
	v_mad_co_u64_u32 v[25:26], null, 0x48, v80, s[2:3]
	v_lshrrev_b16 v27, 12, v11
	v_add_co_u32 v4, s0, s2, v4
	s_wait_alu 0xf1ff
	v_add_co_ci_u32_e64 v5, s0, s3, v5, s0
	v_and_b32_e32 v13, 0xff, v10
	v_cmp_lt_u16_e64 s0, 16, v80
	v_lshl_add_u32 v83, v80, 3, v81
	global_load_b64 v[51:52], v[4:5], off
	v_and_b32_e32 v8, 0xff, v7
	v_and_b32_e32 v12, 0xff, v9
	v_mul_lo_u16 v11, 0xf1, v13
	s_wait_alu 0xf1ff
	v_cndmask_b32_e64 v35, 0, 34, s0
	v_lshl_add_u32 v85, v80, 3, v81
	v_mul_lo_u16 v8, 0xf1, v8
	v_lshrrev_b16 v30, 12, v11
	s_delay_alu instid0(VALU_DEP_2) | instskip(SKIP_1) | instid1(VALU_DEP_3)
	v_lshrrev_b16 v28, 12, v8
	v_mul_lo_u16 v8, 0xf1, v12
	v_mul_lo_u16 v5, v30, 17
	s_delay_alu instid0(VALU_DEP_3) | instskip(NEXT) | instid1(VALU_DEP_3)
	v_mul_lo_u16 v11, v28, 17
	v_lshrrev_b16 v29, 12, v8
	v_mul_lo_u16 v8, v27, 17
	s_delay_alu instid0(VALU_DEP_4) | instskip(NEXT) | instid1(VALU_DEP_3)
	v_sub_nc_u16 v5, v10, v5
	v_mul_lo_u16 v4, v29, 17
	s_delay_alu instid0(VALU_DEP_3) | instskip(SKIP_1) | instid1(VALU_DEP_4)
	v_sub_nc_u16 v31, v6, v8
	v_sub_nc_u16 v6, v7, v11
	v_and_b32_e32 v34, 0xff, v5
	s_delay_alu instid0(VALU_DEP_4) | instskip(NEXT) | instid1(VALU_DEP_4)
	v_sub_nc_u16 v4, v9, v4
	v_and_b32_e32 v7, 0xff, v31
	s_delay_alu instid0(VALU_DEP_4) | instskip(SKIP_1) | instid1(VALU_DEP_4)
	v_and_b32_e32 v32, 0xff, v6
	v_mad_u16 v27, v27, 34, v31
	v_and_b32_e32 v33, 0xff, v4
	s_delay_alu instid0(VALU_DEP_4) | instskip(NEXT) | instid1(VALU_DEP_4)
	v_lshlrev_b32_e32 v4, 3, v7
	v_lshlrev_b32_e32 v5, 3, v32
	s_delay_alu instid0(VALU_DEP_3)
	v_lshlrev_b32_e32 v6, 3, v33
	global_load_b64 v[59:60], v4, s[2:3]
	v_lshlrev_b32_e32 v4, 3, v34
	s_clause 0x2
	global_load_b64 v[57:58], v5, s[2:3]
	global_load_b64 v[55:56], v6, s[2:3]
	;; [unrolled: 1-line block ×3, first 2 shown]
	ds_load_2addr_b64 v[4:7], v84 offset0:136 offset1:170
	v_add_nc_u32_e32 v36, 0x800, v84
	ds_load_2addr_b64 v[8:11], v84 offset1:34
	ds_load_2addr_b64 v[12:15], v84 offset0:204 offset1:238
	ds_load_2addr_b64 v[16:19], v84 offset0:68 offset1:102
	;; [unrolled: 1-line block ×3, first 2 shown]
	v_and_b32_e32 v28, 0xffff, v28
	v_and_b32_e32 v27, 0xff, v27
	;; [unrolled: 1-line block ×3, first 2 shown]
	v_add_nc_u32_e32 v24, v24, v35
	v_and_b32_e32 v30, 0xffff, v30
	v_mul_u32_u24_e32 v28, 34, v28
	v_add_lshl_u32 v90, v61, v27, 3
	v_mul_u32_u24_e32 v29, 34, v29
	v_add_lshl_u32 v87, v61, v24, 3
	v_mul_u32_u24_e32 v24, 34, v30
	global_wb scope:SCOPE_SE
	s_wait_loadcnt_dscnt 0x0
	s_barrier_signal -1
	s_barrier_wait -1
	global_inv scope:SCOPE_SE
	v_mul_f32_e32 v31, v6, v52
	v_mul_f32_e32 v30, v7, v52
	s_delay_alu instid0(VALU_DEP_2) | instskip(NEXT) | instid1(VALU_DEP_2)
	v_fmac_f32_e32 v31, v7, v51
	v_fma_f32 v6, v6, v51, -v30
	s_delay_alu instid0(VALU_DEP_1) | instskip(NEXT) | instid1(VALU_DEP_1)
	v_dual_sub_f32 v7, v9, v31 :: v_dual_sub_f32 v6, v8, v6
	v_fma_f32 v9, v9, 2.0, -v7
	s_delay_alu instid0(VALU_DEP_2) | instskip(SKIP_3) | instid1(VALU_DEP_3)
	v_fma_f32 v8, v8, 2.0, -v6
	v_mul_f32_e32 v27, v12, v60
	v_mul_f32_e32 v30, v21, v56
	;; [unrolled: 1-line block ×3, first 2 shown]
	v_dual_fmac_f32 v27, v13, v59 :: v_dual_add_nc_u32 v28, v28, v32
	v_mul_f32_e32 v32, v23, v54
	s_delay_alu instid0(VALU_DEP_4) | instskip(NEXT) | instid1(VALU_DEP_4)
	v_fma_f32 v20, v20, v55, -v30
	v_fmac_f32_e32 v31, v21, v55
	s_delay_alu instid0(VALU_DEP_4) | instskip(SKIP_4) | instid1(VALU_DEP_4)
	v_add_lshl_u32 v89, v61, v28, 3
	v_dual_mul_f32 v28, v15, v58 :: v_dual_add_nc_u32 v29, v29, v33
	v_mul_f32_e32 v33, v22, v54
	v_fma_f32 v22, v22, v53, -v32
	v_dual_sub_f32 v20, v18, v20 :: v_dual_sub_f32 v21, v19, v31
	v_add_lshl_u32 v88, v61, v29, 3
	v_mul_f32_e32 v29, v14, v58
	v_fma_f32 v14, v14, v57, -v28
	v_dual_fmac_f32 v33, v23, v53 :: v_dual_sub_f32 v22, v4, v22
	v_fma_f32 v18, v18, 2.0, -v20
	s_delay_alu instid0(VALU_DEP_4) | instskip(NEXT) | instid1(VALU_DEP_3)
	v_dual_fmac_f32 v29, v15, v57 :: v_dual_add_nc_u32 v24, v24, v34
	v_dual_sub_f32 v14, v16, v14 :: v_dual_sub_f32 v23, v5, v33
	v_fma_f32 v19, v19, 2.0, -v21
	s_delay_alu instid0(VALU_DEP_3) | instskip(NEXT) | instid1(VALU_DEP_4)
	v_sub_f32_e32 v15, v17, v29
	v_add_lshl_u32 v86, v61, v24, 3
	v_dual_mul_f32 v24, v13, v60 :: v_dual_sub_f32 v13, v11, v27
	v_fma_f32 v16, v16, 2.0, -v14
	s_delay_alu instid0(VALU_DEP_4) | instskip(SKIP_1) | instid1(VALU_DEP_4)
	v_fma_f32 v17, v17, 2.0, -v15
	v_fma_f32 v4, v4, 2.0, -v22
	v_fma_f32 v12, v12, v59, -v24
	v_fma_f32 v11, v11, 2.0, -v13
	v_fma_f32 v5, v5, 2.0, -v23
	s_delay_alu instid0(VALU_DEP_3) | instskip(NEXT) | instid1(VALU_DEP_1)
	v_sub_f32_e32 v12, v10, v12
	v_fma_f32 v10, v10, 2.0, -v12
	ds_store_2addr_b64 v87, v[8:9], v[6:7] offset1:17
	ds_store_2addr_b64 v90, v[10:11], v[12:13] offset1:17
	;; [unrolled: 1-line block ×5, first 2 shown]
	global_wb scope:SCOPE_SE
	s_wait_dscnt 0x0
	s_barrier_signal -1
	s_barrier_wait -1
	global_inv scope:SCOPE_SE
	s_clause 0x4
	global_load_b128 v[16:19], v[25:26], off offset:136
	global_load_b128 v[12:15], v[25:26], off offset:152
	;; [unrolled: 1-line block ×4, first 2 shown]
	global_load_b64 v[61:62], v[25:26], off offset:200
	ds_load_2addr_b64 v[20:23], v84 offset1:34
	ds_load_2addr_b64 v[24:27], v84 offset0:68 offset1:102
	ds_load_2addr_b64 v[28:31], v84 offset0:136 offset1:170
	;; [unrolled: 1-line block ×4, first 2 shown]
	s_wait_loadcnt_dscnt 0x404
	v_dual_mul_f32 v66, v22, v17 :: v_dual_add_nc_u32 v65, 0x400, v83
	s_wait_dscnt 0x3
	v_dual_mul_f32 v63, v23, v17 :: v_dual_mul_f32 v64, v25, v19
	s_wait_loadcnt 0x3
	v_dual_mul_f32 v67, v24, v19 :: v_dual_mul_f32 v68, v27, v13
	s_wait_dscnt 0x2
	v_dual_mul_f32 v69, v26, v13 :: v_dual_mul_f32 v70, v29, v15
	s_wait_loadcnt 0x2
	v_dual_mul_f32 v71, v28, v15 :: v_dual_mul_f32 v72, v31, v9
	;; [unrolled: 4-line block ×4, first 2 shown]
	v_dual_mul_f32 v95, v38, v62 :: v_dual_fmac_f32 v66, v23, v16
	v_fma_f32 v22, v22, v16, -v63
	v_fma_f32 v23, v24, v18, -v64
	;; [unrolled: 1-line block ×4, first 2 shown]
	v_fmac_f32_e32 v93, v37, v6
	v_fmac_f32_e32 v71, v29, v14
	;; [unrolled: 1-line block ×4, first 2 shown]
	v_fma_f32 v25, v28, v14, -v70
	v_fmac_f32_e32 v69, v27, v12
	v_fma_f32 v27, v32, v10, -v74
	v_fma_f32 v28, v34, v4, -v76
	;; [unrolled: 1-line block ×4, first 2 shown]
	v_fmac_f32_e32 v73, v31, v8
	v_dual_fmac_f32 v91, v35, v4 :: v_dual_sub_f32 v38, v25, v23
	v_dual_fmac_f32 v95, v39, v61 :: v_dual_sub_f32 v68, v25, v27
	v_add_f32_e32 v32, v25, v27
	v_sub_f32_e32 v34, v71, v75
	v_dual_sub_f32 v35, v23, v25 :: v_dual_add_f32 v92, v22, v24
	v_dual_sub_f32 v36, v29, v27 :: v_dual_add_f32 v37, v23, v29
	v_dual_add_f32 v94, v26, v28 :: v_dual_sub_f32 v39, v27, v29
	v_sub_f32_e32 v96, v69, v95
	v_dual_add_f32 v63, v21, v67 :: v_dual_sub_f32 v98, v24, v26
	v_add_f32_e32 v74, v67, v93
	v_sub_f32_e32 v70, v67, v71
	v_add_f32_e32 v64, v71, v75
	v_dual_add_f32 v31, v20, v23 :: v_dual_sub_f32 v76, v75, v93
	v_dual_sub_f32 v33, v67, v93 :: v_dual_sub_f32 v72, v93, v75
	v_dual_sub_f32 v23, v23, v29 :: v_dual_add_f32 v100, v24, v30
	v_dual_sub_f32 v67, v71, v67 :: v_dual_sub_f32 v102, v28, v30
	v_dual_add_f32 v103, v66, v69 :: v_dual_add_f32 v108, v69, v95
	v_sub_f32_e32 v97, v73, v91
	v_dual_sub_f32 v99, v30, v28 :: v_dual_add_f32 v104, v73, v91
	v_dual_sub_f32 v101, v26, v24 :: v_dual_sub_f32 v106, v69, v73
	v_sub_f32_e32 v105, v26, v28
	v_dual_sub_f32 v107, v95, v91 :: v_dual_add_f32 v26, v92, v26
	v_sub_f32_e32 v69, v73, v69
	v_sub_f32_e32 v109, v91, v95
	v_add_f32_e32 v25, v31, v25
	v_fma_f32 v31, -0.5, v32, v20
	v_add_f32_e32 v32, v35, v36
	v_fma_f32 v20, -0.5, v37, v20
	v_dual_add_f32 v35, v38, v39 :: v_dual_add_f32 v38, v67, v76
	v_add_f32_e32 v36, v63, v71
	v_fma_f32 v71, -0.5, v64, v21
	v_fma_f32 v21, -0.5, v74, v21
	;; [unrolled: 1-line block ×3, first 2 shown]
	v_dual_fmac_f32 v22, -0.5, v100 :: v_dual_add_f32 v67, v103, v73
	v_dual_sub_f32 v24, v24, v30 :: v_dual_add_f32 v37, v70, v72
	v_dual_add_f32 v63, v98, v99 :: v_dual_add_f32 v64, v101, v102
	v_fma_f32 v70, -0.5, v104, v66
	v_fmac_f32_e32 v66, -0.5, v108
	v_dual_add_f32 v72, v106, v107 :: v_dual_add_f32 v69, v69, v109
	v_add_f32_e32 v36, v36, v75
	v_dual_add_f32 v25, v25, v27 :: v_dual_fmamk_f32 v74, v23, 0xbf737871, v71
	v_dual_fmamk_f32 v27, v33, 0x3f737871, v31 :: v_dual_add_f32 v26, v26, v28
	v_dual_fmac_f32 v31, 0xbf737871, v33 :: v_dual_fmamk_f32 v76, v97, 0xbf737871, v22
	v_dual_fmac_f32 v71, 0x3f737871, v23 :: v_dual_fmac_f32 v22, 0x3f737871, v97
	v_fmamk_f32 v75, v68, 0x3f737871, v21
	v_fmac_f32_e32 v21, 0xbf737871, v68
	v_dual_fmamk_f32 v28, v96, 0x3f737871, v39 :: v_dual_add_f32 v67, v67, v91
	v_fmamk_f32 v73, v34, 0xbf737871, v20
	v_fmac_f32_e32 v20, 0x3f737871, v34
	v_fmamk_f32 v92, v105, 0x3f737871, v66
	v_fmac_f32_e32 v66, 0xbf737871, v105
	v_dual_add_f32 v25, v25, v29 :: v_dual_fmac_f32 v74, 0xbf167918, v68
	v_fmamk_f32 v91, v24, 0xbf737871, v70
	v_fmac_f32_e32 v70, 0x3f737871, v24
	v_dual_fmac_f32 v27, 0x3f167918, v34 :: v_dual_fmac_f32 v28, 0x3f167918, v97
	v_dual_fmac_f32 v31, 0xbf167918, v34 :: v_dual_fmac_f32 v20, 0xbf167918, v33
	v_add_f32_e32 v29, v36, v93
	v_dual_fmac_f32 v75, 0xbf167918, v23 :: v_dual_fmac_f32 v22, 0xbf167918, v96
	v_dual_fmac_f32 v21, 0x3f167918, v23 :: v_dual_fmac_f32 v66, 0x3f167918, v24
	v_dual_add_f32 v23, v26, v30 :: v_dual_fmac_f32 v92, 0xbf167918, v24
	v_fmac_f32_e32 v76, 0x3f167918, v96
	v_dual_add_f32 v26, v67, v95 :: v_dual_fmac_f32 v39, 0xbf737871, v96
	v_fmac_f32_e32 v73, 0x3f167918, v33
	v_dual_fmac_f32 v27, 0x3e9e377a, v32 :: v_dual_fmac_f32 v20, 0x3e9e377a, v35
	v_dual_fmac_f32 v75, 0x3e9e377a, v38 :: v_dual_fmac_f32 v22, 0x3e9e377a, v64
	s_delay_alu instid0(VALU_DEP_3) | instskip(SKIP_4) | instid1(VALU_DEP_4)
	v_dual_fmac_f32 v73, 0x3e9e377a, v35 :: v_dual_fmac_f32 v76, 0x3e9e377a, v64
	v_dual_add_f32 v64, v29, v26 :: v_dual_fmac_f32 v39, 0xbf167918, v97
	v_dual_fmac_f32 v71, 0x3f167918, v68 :: v_dual_fmac_f32 v70, 0x3f167918, v105
	v_fmac_f32_e32 v92, 0x3e9e377a, v69
	v_fmac_f32_e32 v28, 0x3e9e377a, v63
	;; [unrolled: 1-line block ×3, first 2 shown]
	s_delay_alu instid0(VALU_DEP_4) | instskip(SKIP_2) | instid1(VALU_DEP_4)
	v_fmac_f32_e32 v71, 0x3e9e377a, v37
	v_dual_fmac_f32 v66, 0x3e9e377a, v69 :: v_dual_add_f32 v63, v25, v23
	v_sub_f32_e32 v24, v25, v23
	v_dual_sub_f32 v25, v29, v26 :: v_dual_mul_f32 v30, 0x3f4f1bbd, v39
	v_mul_f32_e32 v29, 0x3f737871, v92
	v_dual_mul_f32 v26, 0x3e9e377a, v22 :: v_dual_fmac_f32 v31, 0x3e9e377a, v32
	v_fmac_f32_e32 v74, 0x3e9e377a, v37
	s_delay_alu instid0(VALU_DEP_3) | instskip(NEXT) | instid1(VALU_DEP_3)
	v_dual_mul_f32 v32, 0x3e9e377a, v66 :: v_dual_fmac_f32 v29, 0x3e9e377a, v76
	v_fma_f32 v66, 0x3f737871, v66, -v26
	v_fmac_f32_e32 v91, 0xbf167918, v105
	v_dual_fmac_f32 v21, 0x3e9e377a, v38 :: v_dual_fmac_f32 v70, 0x3e9e377a, v72
	s_delay_alu instid0(VALU_DEP_4) | instskip(NEXT) | instid1(VALU_DEP_3)
	v_fma_f32 v22, 0xbf737871, v22, -v32
	v_dual_add_f32 v32, v20, v66 :: v_dual_fmac_f32 v91, 0x3e9e377a, v72
	v_dual_add_f32 v38, v73, v29 :: v_dual_mul_f32 v67, 0xbf167918, v28
	s_delay_alu instid0(VALU_DEP_4) | instskip(SKIP_1) | instid1(VALU_DEP_4)
	v_fma_f32 v69, 0x3f167918, v70, -v30
	v_mul_f32_e32 v33, 0x3f4f1bbd, v70
	v_dual_mul_f32 v23, 0x3f167918, v91 :: v_dual_sub_f32 v30, v20, v66
	ds_store_b64 v85, v[63:64]
	v_add_f32_e32 v34, v31, v69
	v_dual_sub_f32 v20, v31, v69 :: v_dual_fmac_f32 v23, 0x3f4f1bbd, v28
	v_dual_sub_f32 v28, v73, v29 :: v_dual_fmac_f32 v67, 0x3f4f1bbd, v91
	v_mul_f32_e32 v68, 0xbf737871, v76
	v_fma_f32 v70, 0xbf167918, v39, -v33
	s_delay_alu instid0(VALU_DEP_4) | instskip(NEXT) | instid1(VALU_DEP_3)
	v_dual_add_f32 v36, v27, v23 :: v_dual_add_f32 v33, v21, v22
	v_dual_add_f32 v37, v74, v67 :: v_dual_fmac_f32 v68, 0x3e9e377a, v92
	s_delay_alu instid0(VALU_DEP_3)
	v_add_f32_e32 v35, v71, v70
	v_sub_f32_e32 v26, v27, v23
	v_sub_f32_e32 v27, v74, v67
	v_sub_f32_e32 v31, v21, v22
	v_add_f32_e32 v39, v75, v68
	v_sub_f32_e32 v29, v75, v68
	v_sub_f32_e32 v21, v71, v70
	ds_store_2addr_b64 v83, v[36:37], v[38:39] offset0:34 offset1:68
	ds_store_2addr_b64 v83, v[32:33], v[34:35] offset0:102 offset1:136
	;; [unrolled: 1-line block ×4, first 2 shown]
	ds_store_b64 v83, v[20:21] offset:2448
	global_wb scope:SCOPE_SE
	s_wait_dscnt 0x0
	s_barrier_signal -1
	s_barrier_wait -1
	global_inv scope:SCOPE_SE
	s_and_saveexec_b32 s2, vcc_lo
	s_cbranch_execz .LBB0_9
; %bb.8:
	global_load_b64 v[22:23], v78, s[12:13] offset:2720
	s_add_nc_u64 s[0:1], s[12:13], 0xaa0
	s_clause 0xf
	global_load_b64 v[111:112], v78, s[0:1] offset:160
	global_load_b64 v[113:114], v78, s[0:1] offset:320
	;; [unrolled: 1-line block ×16, first 2 shown]
	ds_load_b64 v[65:66], v85
	v_add_nc_u32_e32 v143, 0x800, v83
	s_wait_loadcnt_dscnt 0x1000
	v_mul_f32_e32 v67, v66, v23
	v_mul_f32_e32 v68, v65, v23
	s_delay_alu instid0(VALU_DEP_2) | instskip(NEXT) | instid1(VALU_DEP_2)
	v_fma_f32 v67, v65, v22, -v67
	v_fmac_f32_e32 v68, v66, v22
	ds_store_b64 v85, v[67:68]
	ds_load_2addr_b64 v[65:68], v83 offset0:20 offset1:40
	ds_load_2addr_b64 v[69:72], v83 offset0:60 offset1:80
	;; [unrolled: 1-line block ×8, first 2 shown]
	s_wait_loadcnt_dscnt 0xf07
	v_mul_f32_e32 v22, v66, v112
	s_wait_loadcnt 0xe
	v_dual_mul_f32 v23, v65, v112 :: v_dual_mul_f32 v112, v67, v114
	s_wait_loadcnt_dscnt 0xd06
	v_dual_mul_f32 v144, v68, v114 :: v_dual_mul_f32 v145, v70, v116
	s_delay_alu instid0(VALU_DEP_2)
	v_dual_mul_f32 v114, v69, v116 :: v_dual_fmac_f32 v23, v66, v111
	s_wait_loadcnt_dscnt 0xb05
	v_dual_mul_f32 v146, v72, v118 :: v_dual_mul_f32 v147, v74, v120
	s_wait_loadcnt_dscnt 0x904
	v_dual_mul_f32 v116, v71, v118 :: v_dual_mul_f32 v149, v92, v124
	v_mul_f32_e32 v118, v73, v120
	v_mul_f32_e32 v148, v76, v122
	s_wait_loadcnt_dscnt 0x703
	v_dual_mul_f32 v120, v75, v122 :: v_dual_mul_f32 v151, v96, v128
	v_mul_f32_e32 v122, v91, v124
	s_wait_loadcnt_dscnt 0x502
	v_dual_mul_f32 v150, v94, v126 :: v_dual_mul_f32 v153, v100, v132
	s_wait_loadcnt_dscnt 0x301
	v_dual_mul_f32 v124, v93, v126 :: v_dual_mul_f32 v155, v104, v136
	v_mul_f32_e32 v126, v95, v128
	s_wait_loadcnt_dscnt 0x100
	v_dual_mul_f32 v152, v98, v130 :: v_dual_mul_f32 v157, v108, v140
	v_mul_f32_e32 v128, v97, v130
	v_mul_f32_e32 v130, v99, v132
	;; [unrolled: 1-line block ×8, first 2 shown]
	s_wait_loadcnt 0x0
	v_mul_f32_e32 v158, v110, v142
	v_mul_f32_e32 v140, v109, v142
	v_fma_f32 v22, v65, v111, -v22
	v_fma_f32 v111, v67, v113, -v144
	v_fmac_f32_e32 v112, v68, v113
	v_fma_f32 v113, v69, v115, -v145
	v_fmac_f32_e32 v114, v70, v115
	;; [unrolled: 2-line block ×15, first 2 shown]
	ds_store_2addr_b64 v83, v[22:23], v[111:112] offset0:20 offset1:40
	ds_store_2addr_b64 v83, v[113:114], v[115:116] offset0:60 offset1:80
	;; [unrolled: 1-line block ×8, first 2 shown]
.LBB0_9:
	s_wait_alu 0xfffe
	s_or_b32 exec_lo, exec_lo, s2
	global_wb scope:SCOPE_SE
	s_wait_dscnt 0x0
	s_barrier_signal -1
	s_barrier_wait -1
	global_inv scope:SCOPE_SE
	s_and_saveexec_b32 s0, vcc_lo
	s_cbranch_execz .LBB0_11
; %bb.10:
	ds_load_2addr_b64 v[20:23], v85 offset0:180 offset1:200
	s_wait_dscnt 0x0
	v_dual_mov_b32 v49, v22 :: v_dual_add_nc_u32 v0, 0x800, v85
	ds_load_2addr_b64 v[41:44], v85 offset0:220 offset1:240
	ds_load_2addr_b64 v[65:68], v0 offset0:4 offset1:24
	ds_load_2addr_b64 v[0:3], v0 offset0:44 offset1:64
	ds_load_b64 v[63:64], v85
	ds_load_2addr_b64 v[36:39], v85 offset0:20 offset1:40
	ds_load_2addr_b64 v[32:35], v85 offset0:60 offset1:80
	;; [unrolled: 1-line block ×4, first 2 shown]
	s_wait_dscnt 0x7
	v_dual_mov_b32 v50, v23 :: v_dual_mov_b32 v47, v41
	v_dual_mov_b32 v48, v42 :: v_dual_mov_b32 v45, v43
	s_wait_dscnt 0x6
	v_dual_mov_b32 v46, v44 :: v_dual_mov_b32 v43, v65
	v_dual_mov_b32 v44, v66 :: v_dual_mov_b32 v41, v67
	v_mov_b32_e32 v42, v68
.LBB0_11:
	s_wait_alu 0xfffe
	s_or_b32 exec_lo, exec_lo, s0
	global_wb scope:SCOPE_SE
	s_wait_dscnt 0x0
	s_barrier_signal -1
	s_barrier_wait -1
	global_inv scope:SCOPE_SE
	s_and_saveexec_b32 s0, vcc_lo
	s_cbranch_execz .LBB0_13
; %bb.12:
	v_dual_add_f32 v76, v3, v37 :: v_dual_add_f32 v203, v44, v35
	v_dual_sub_f32 v96, v36, v2 :: v_dual_sub_f32 v91, v34, v43
	v_dual_add_f32 v210, v1, v39 :: v_dual_sub_f32 v93, v32, v41
	s_delay_alu instid0(VALU_DEP_3) | instskip(SKIP_1) | instid1(VALU_DEP_3)
	v_dual_mul_f32 v110, 0xbf7ba420, v76 :: v_dual_sub_f32 v95, v26, v47
	v_dual_sub_f32 v92, v38, v0 :: v_dual_add_f32 v75, v48, v27
	v_dual_mul_f32 v112, 0x3f6eb680, v210 :: v_dual_sub_f32 v171, v39, v1
	v_add_f32_e32 v208, v42, v33
	s_delay_alu instid0(VALU_DEP_4) | instskip(NEXT) | instid1(VALU_DEP_3)
	v_dual_fmamk_f32 v22, v96, 0x3e3c28d5, v110 :: v_dual_add_f32 v193, v50, v29
	v_dual_fmamk_f32 v23, v92, 0xbeb8f4ab, v112 :: v_dual_add_f32 v204, v46, v25
	s_delay_alu instid0(VALU_DEP_2) | instskip(SKIP_2) | instid1(VALU_DEP_3)
	v_dual_mul_f32 v113, 0xbf59a7d5, v208 :: v_dual_add_f32 v22, v64, v22
	v_sub_f32_e32 v94, v24, v45
	v_dual_mul_f32 v114, 0x3f3d2fb0, v203 :: v_dual_add_f32 v99, v0, v38
	v_fmamk_f32 v65, v93, 0x3f06c442, v113
	s_delay_alu instid0(VALU_DEP_4) | instskip(NEXT) | instid1(VALU_DEP_3)
	v_dual_mul_f32 v119, 0xbf1a4643, v204 :: v_dual_add_f32 v22, v23, v22
	v_dual_add_f32 v98, v2, v36 :: v_dual_fmamk_f32 v23, v91, 0xbf2c7751, v114
	v_dual_mul_f32 v116, 0x3ee437d1, v75 :: v_dual_sub_f32 v183, v33, v42
	v_sub_f32_e32 v170, v37, v3
	s_delay_alu instid0(VALU_DEP_4) | instskip(SKIP_2) | instid1(VALU_DEP_3)
	v_dual_add_f32 v22, v65, v22 :: v_dual_mul_f32 v117, 0x3eb8f4ab, v171
	v_fmamk_f32 v65, v94, 0x3f4c4adb, v119
	v_add_f32_e32 v101, v41, v32
	v_dual_mul_f32 v111, 0xbf06c442, v183 :: v_dual_add_f32 v22, v23, v22
	v_fmamk_f32 v23, v95, 0xbf65296c, v116
	v_dual_mul_f32 v118, 0xbe3c28d5, v170 :: v_dual_sub_f32 v97, v28, v49
	v_dual_mul_f32 v137, 0xbf59a7d5, v76 :: v_dual_sub_f32 v194, v29, v50
	s_delay_alu instid0(VALU_DEP_4) | instskip(NEXT) | instid1(VALU_DEP_3)
	v_dual_add_f32 v22, v65, v22 :: v_dual_fmamk_f32 v65, v99, 0x3f6eb680, v117
	v_fmamk_f32 v66, v98, 0xbf7ba420, v118
	v_dual_mul_f32 v115, 0xbe8c1d8e, v193 :: v_dual_add_f32 v196, v21, v31
	s_delay_alu instid0(VALU_DEP_3) | instskip(SKIP_1) | instid1(VALU_DEP_4)
	v_add_f32_e32 v22, v23, v22
	v_sub_f32_e32 v191, v25, v46
	v_add_f32_e32 v66, v63, v66
	v_sub_f32_e32 v190, v35, v44
	v_mul_f32_e32 v122, 0x3dbcf732, v196
	s_delay_alu instid0(VALU_DEP_4) | instskip(NEXT) | instid1(VALU_DEP_4)
	v_dual_add_f32 v103, v45, v24 :: v_dual_mul_f32 v108, 0xbf4c4adb, v191
	v_add_f32_e32 v23, v65, v66
	v_dual_fmamk_f32 v65, v101, 0xbf59a7d5, v111 :: v_dual_add_f32 v102, v43, v34
	v_mul_f32_e32 v107, 0x3f2c7751, v190
	v_dual_fmamk_f32 v66, v97, 0x3f763a35, v115 :: v_dual_sub_f32 v187, v27, v48
	s_delay_alu instid0(VALU_DEP_3) | instskip(NEXT) | instid1(VALU_DEP_3)
	v_dual_add_f32 v23, v65, v23 :: v_dual_add_f32 v104, v47, v26
	v_fmamk_f32 v65, v102, 0x3f3d2fb0, v107
	v_sub_f32_e32 v100, v30, v20
	s_delay_alu instid0(VALU_DEP_4)
	v_add_f32_e32 v22, v66, v22
	v_mul_f32_e32 v142, 0x3f65296c, v171
	v_mul_f32_e32 v123, 0x3ee437d1, v210
	v_add_f32_e32 v23, v65, v23
	v_fmamk_f32 v65, v103, 0xbf1a4643, v108
	v_fmamk_f32 v66, v100, 0xbf7ee86f, v122
	;; [unrolled: 1-line block ×3, first 2 shown]
	v_add_f32_e32 v106, v49, v28
	s_delay_alu instid0(VALU_DEP_4) | instskip(NEXT) | instid1(VALU_DEP_4)
	v_dual_mul_f32 v120, 0xbf763a35, v194 :: v_dual_add_f32 v65, v65, v23
	v_add_f32_e32 v23, v66, v22
	v_mul_f32_e32 v109, 0x3f65296c, v187
	v_sub_f32_e32 v195, v31, v21
	v_add_f32_e32 v105, v20, v30
	v_mul_f32_e32 v136, 0xbe8c1d8e, v210
	v_mul_f32_e32 v156, 0x3f7ee86f, v191
	v_fmamk_f32 v67, v104, 0x3ee437d1, v109
	v_mul_f32_e32 v127, 0x3dbcf732, v204
	v_mul_f32_e32 v143, 0xbf7ee86f, v183
	;; [unrolled: 1-line block ×4, first 2 shown]
	v_dual_add_f32 v22, v67, v65 :: v_dual_add_f32 v65, v64, v68
	v_fmamk_f32 v68, v99, 0x3ee437d1, v142
	v_fmamk_f32 v66, v92, 0xbf65296c, v123
	v_mul_f32_e32 v124, 0x3dbcf732, v208
	v_fmamk_f32 v67, v106, 0xbe8c1d8e, v120
	v_mul_f32_e32 v121, 0x3f7ee86f, v195
	v_fmamk_f32 v70, v94, 0xbf7ee86f, v127
	s_delay_alu instid0(VALU_DEP_4) | instskip(NEXT) | instid1(VALU_DEP_3)
	v_dual_add_f32 v65, v66, v65 :: v_dual_fmamk_f32 v66, v93, 0x3f7ee86f, v124
	v_dual_add_f32 v22, v67, v22 :: v_dual_fmamk_f32 v67, v105, 0x3dbcf732, v121
	v_mul_f32_e32 v141, 0xbf06c442, v170
	v_mul_f32_e32 v129, 0x3f6eb680, v204
	s_delay_alu instid0(VALU_DEP_4) | instskip(NEXT) | instid1(VALU_DEP_3)
	v_dual_mul_f32 v128, 0xbf1a4643, v203 :: v_dual_add_f32 v65, v66, v65
	v_dual_add_f32 v22, v67, v22 :: v_dual_fmamk_f32 v67, v98, 0xbf59a7d5, v141
	v_mul_f32_e32 v126, 0xbf59a7d5, v203
	v_mul_f32_e32 v130, 0x3f3d2fb0, v193
	;; [unrolled: 1-line block ×4, first 2 shown]
	v_add_f32_e32 v67, v63, v67
	v_fmamk_f32 v66, v91, 0xbf4c4adb, v128
	v_mul_f32_e32 v135, 0xbf7ba420, v75
	v_mul_f32_e32 v151, 0x3f2c7751, v194
	v_dual_fmamk_f32 v69, v92, 0xbf763a35, v136 :: v_dual_mul_f32 v138, 0xbf763a35, v195
	v_dual_add_f32 v67, v68, v67 :: v_dual_fmamk_f32 v68, v101, 0x3dbcf732, v143
	v_add_f32_e32 v65, v66, v65
	v_fmamk_f32 v66, v94, 0x3eb8f4ab, v129
	v_mul_f32_e32 v131, 0xbe8c1d8e, v196
	v_mul_f32_e32 v155, 0x3f763a35, v171
	v_dual_add_f32 v67, v68, v67 :: v_dual_fmamk_f32 v68, v102, 0xbf1a4643, v146
	s_delay_alu instid0(VALU_DEP_4) | instskip(SKIP_2) | instid1(VALU_DEP_4)
	v_dual_add_f32 v65, v66, v65 :: v_dual_mul_f32 v144, 0xbeb8f4ab, v183
	v_mul_f32_e32 v125, 0x3f6eb680, v208
	v_mul_f32_e32 v145, 0xbf06c442, v190
	v_dual_add_f32 v67, v68, v67 :: v_dual_fmamk_f32 v68, v103, 0x3f6eb680, v162
	v_mul_f32_e32 v134, 0x3ee437d1, v196
	v_mul_f32_e32 v158, 0xbe3c28d5, v194
	;; [unrolled: 1-line block ×3, first 2 shown]
	s_delay_alu instid0(VALU_DEP_4) | instskip(SKIP_2) | instid1(VALU_DEP_3)
	v_dual_mul_f32 v172, 0x3ee437d1, v204 :: v_dual_add_f32 v67, v68, v67
	v_fmamk_f32 v68, v104, 0xbf7ba420, v163
	v_fmamk_f32 v66, v95, 0x3e3c28d5, v135
	v_dual_mul_f32 v147, 0x3f65296c, v195 :: v_dual_fmamk_f32 v74, v94, 0x3f65296c, v172
	s_delay_alu instid0(VALU_DEP_3) | instskip(NEXT) | instid1(VALU_DEP_3)
	v_dual_mul_f32 v178, 0xbf763a35, v170 :: v_dual_add_f32 v67, v68, v67
	v_dual_add_f32 v65, v66, v65 :: v_dual_fmamk_f32 v66, v97, 0xbf2c7751, v130
	v_fmamk_f32 v68, v106, 0x3f3d2fb0, v151
	v_mul_f32_e32 v132, 0x3f3d2fb0, v75
	v_mul_f32_e32 v180, 0x3f06c442, v171
	;; [unrolled: 1-line block ×3, first 2 shown]
	v_add_f32_e32 v65, v66, v65
	v_dual_add_f32 v67, v68, v67 :: v_dual_fmamk_f32 v68, v105, 0xbe8c1d8e, v138
	v_fmamk_f32 v66, v100, 0x3f763a35, v131
	v_mul_f32_e32 v157, 0xbf2c7751, v187
	v_mul_f32_e32 v174, 0xbf59a7d5, v210
	;; [unrolled: 1-line block ×3, first 2 shown]
	s_delay_alu instid0(VALU_DEP_4) | instskip(SKIP_1) | instid1(VALU_DEP_4)
	v_dual_mul_f32 v175, 0x3f3d2fb0, v208 :: v_dual_add_f32 v66, v66, v65
	v_fmamk_f32 v65, v96, 0x3f4c4adb, v139
	v_fmamk_f32 v71, v92, 0xbf06c442, v174
	v_mul_f32_e32 v161, 0x3f2c7751, v183
	v_mul_f32_e32 v168, 0x3f3d2fb0, v204
	;; [unrolled: 1-line block ×3, first 2 shown]
	v_add_f32_e32 v65, v64, v65
	v_dual_mul_f32 v177, 0xbf7ba420, v204 :: v_dual_mul_f32 v164, 0xbf7ba420, v210
	v_mul_f32_e32 v140, 0xbf65296c, v190
	s_delay_alu instid0(VALU_DEP_4) | instskip(NEXT) | instid1(VALU_DEP_4)
	v_dual_mul_f32 v181, 0xbf1a4643, v193 :: v_dual_fmamk_f32 v198, v99, 0xbf1a4643, v215
	v_add_f32_e32 v65, v69, v65
	v_fmamk_f32 v69, v93, 0x3eb8f4ab, v125
	v_mul_f32_e32 v160, 0xbf1a4643, v196
	v_mul_f32_e32 v166, 0xbf7ba420, v208
	;; [unrolled: 1-line block ×3, first 2 shown]
	s_delay_alu instid0(VALU_DEP_4) | instskip(SKIP_4) | instid1(VALU_DEP_4)
	v_dual_mul_f32 v184, 0x3f6eb680, v75 :: v_dual_add_f32 v65, v69, v65
	v_fmamk_f32 v69, v91, 0x3f06c442, v126
	v_mul_f32_e32 v207, 0x3f763a35, v190
	v_mul_f32_e32 v232, 0xbe8c1d8e, v75
	v_dual_fmamk_f32 v73, v102, 0x3ee437d1, v140 :: v_dual_mul_f32 v200, 0x3ee437d1, v76
	v_add_f32_e32 v69, v69, v65
	v_add_f32_e32 v65, v68, v67
	v_fmamk_f32 v199, v102, 0xbe8c1d8e, v207
	v_mul_f32_e32 v218, 0xbf7ee86f, v194
	v_mul_f32_e32 v185, 0x3dbcf732, v193
	v_dual_add_f32 v68, v70, v69 :: v_dual_fmamk_f32 v69, v95, 0x3f2c7751, v132
	v_fmamk_f32 v70, v99, 0xbe8c1d8e, v155
	v_fmamk_f32 v72, v99, 0xbf59a7d5, v180
	v_mul_f32_e32 v205, 0x3f763a35, v183
	v_mul_f32_e32 v165, 0xbe8c1d8e, v208
	v_add_f32_e32 v68, v69, v68
	v_fmamk_f32 v69, v97, 0x3e3c28d5, v133
	v_mul_f32_e32 v209, 0x3eb8f4ab, v190
	v_mul_f32_e32 v169, 0x3f6eb680, v203
	;; [unrolled: 1-line block ×4, first 2 shown]
	v_dual_add_f32 v68, v69, v68 :: v_dual_fmamk_f32 v69, v100, 0xbf65296c, v134
	v_mul_f32_e32 v153, 0xbf4c4adb, v170
	v_mul_f32_e32 v179, 0x3dbcf732, v75
	;; [unrolled: 1-line block ×3, first 2 shown]
	s_delay_alu instid0(VALU_DEP_4) | instskip(NEXT) | instid1(VALU_DEP_4)
	v_dual_mul_f32 v213, 0x3f4c4adb, v194 :: v_dual_add_f32 v68, v69, v68
	v_fmamk_f32 v67, v98, 0xbf1a4643, v153
	v_fmamk_f32 v69, v96, 0x3f763a35, v173
	v_mul_f32_e32 v154, 0xbf4c4adb, v195
	v_fmamk_f32 v224, v97, 0xbf65296c, v219
	v_mul_f32_e32 v201, 0xbf7ee86f, v170
	v_add_f32_e32 v67, v63, v67
	v_dual_add_f32 v69, v64, v69 :: v_dual_mul_f32 v152, 0xbeb8f4ab, v194
	v_mul_f32_e32 v159, 0x3f6eb680, v193
	v_dual_mul_f32 v189, 0xbf1a4643, v210 :: v_dual_mul_f32 v228, 0xbf1a4643, v208
	s_delay_alu instid0(VALU_DEP_4) | instskip(NEXT) | instid1(VALU_DEP_4)
	v_dual_add_f32 v67, v70, v67 :: v_dual_fmamk_f32 v70, v101, 0x3f6eb680, v144
	v_add_f32_e32 v69, v71, v69
	v_fmamk_f32 v71, v93, 0xbf2c7751, v175
	v_dual_mul_f32 v176, 0x3ee437d1, v203 :: v_dual_add_f32 v37, v37, v64
	s_delay_alu instid0(VALU_DEP_4) | instskip(NEXT) | instid1(VALU_DEP_3)
	v_add_f32_e32 v67, v70, v67
	v_dual_fmamk_f32 v70, v102, 0xbf59a7d5, v145 :: v_dual_add_f32 v69, v71, v69
	s_delay_alu instid0(VALU_DEP_3) | instskip(NEXT) | instid1(VALU_DEP_4)
	v_fmamk_f32 v71, v91, 0x3f65296c, v176
	v_add_f32_e32 v37, v39, v37
	v_mul_f32_e32 v167, 0xbe8c1d8e, v203
	s_delay_alu instid0(VALU_DEP_4) | instskip(NEXT) | instid1(VALU_DEP_4)
	v_dual_add_f32 v67, v70, v67 :: v_dual_fmamk_f32 v70, v103, 0x3dbcf732, v156
	v_add_f32_e32 v69, v71, v69
	v_fmamk_f32 v71, v94, 0x3e3c28d5, v177
	v_mul_f32_e32 v188, 0xbf59a7d5, v75
	v_mul_f32_e32 v202, 0xbe3c28d5, v171
	v_dual_add_f32 v67, v70, v67 :: v_dual_fmamk_f32 v70, v104, 0x3f3d2fb0, v157
	s_delay_alu instid0(VALU_DEP_4) | instskip(SKIP_2) | instid1(VALU_DEP_4)
	v_add_f32_e32 v69, v71, v69
	v_fmamk_f32 v71, v95, 0xbf7ee86f, v179
	v_mul_f32_e32 v206, 0x3e3c28d5, v183
	v_dual_mul_f32 v182, 0x3f3d2fb0, v196 :: v_dual_add_f32 v67, v70, v67
	s_delay_alu instid0(VALU_DEP_3) | instskip(SKIP_2) | instid1(VALU_DEP_3)
	v_dual_fmamk_f32 v70, v106, 0xbf7ba420, v158 :: v_dual_add_f32 v69, v71, v69
	v_fmamk_f32 v71, v97, 0x3eb8f4ab, v159
	v_dual_mul_f32 v220, 0xbf65296c, v191 :: v_dual_add_f32 v37, v33, v37
	v_dual_add_f32 v67, v70, v67 :: v_dual_fmamk_f32 v70, v105, 0x3ee437d1, v147
	s_delay_alu instid0(VALU_DEP_3) | instskip(SKIP_1) | instid1(VALU_DEP_4)
	v_add_f32_e32 v69, v71, v69
	v_fmamk_f32 v71, v100, 0x3f4c4adb, v160
	v_dual_mul_f32 v222, 0xbf06c442, v187 :: v_dual_add_f32 v35, v35, v37
	s_delay_alu instid0(VALU_DEP_4) | instskip(SKIP_4) | instid1(VALU_DEP_4)
	v_add_f32_e32 v67, v70, v67
	v_fmamk_f32 v70, v98, 0xbe8c1d8e, v178
	v_fmac_f32_e32 v128, 0x3f4c4adb, v91
	v_add_f32_e32 v39, v36, v63
	v_dual_fmamk_f32 v148, v92, 0x3f4c4adb, v189 :: v_dual_add_f32 v25, v25, v35
	v_dual_add_f32 v70, v63, v70 :: v_dual_mul_f32 v217, 0xbeb8f4ab, v187
	v_fmac_f32_e32 v136, 0x3f763a35, v92
	v_mul_f32_e32 v233, 0xbf7ee86f, v171
	s_delay_alu instid0(VALU_DEP_3) | instskip(SKIP_2) | instid1(VALU_DEP_3)
	v_dual_add_f32 v25, v27, v25 :: v_dual_add_f32 v70, v72, v70
	v_fmamk_f32 v72, v101, 0x3f3d2fb0, v161
	v_mul_f32_e32 v171, 0xbf2c7751, v171
	v_dual_fmac_f32 v126, 0xbf06c442, v91 :: v_dual_add_f32 v25, v29, v25
	v_fmac_f32_e32 v174, 0x3f06c442, v92
	s_delay_alu instid0(VALU_DEP_4) | instskip(SKIP_1) | instid1(VALU_DEP_4)
	v_add_f32_e32 v72, v72, v70
	v_dual_add_f32 v70, v71, v69 :: v_dual_fmamk_f32 v69, v96, 0x3f7ee86f, v192
	v_add_f32_e32 v25, v31, v25
	v_fmac_f32_e32 v115, 0xbf763a35, v97
	s_delay_alu instid0(VALU_DEP_4) | instskip(NEXT) | instid1(VALU_DEP_4)
	v_dual_add_f32 v71, v73, v72 :: v_dual_fmamk_f32 v72, v103, 0xbf7ba420, v149
	v_add_f32_e32 v69, v64, v69
	v_fmamk_f32 v73, v92, 0x3e3c28d5, v164
	v_dual_mul_f32 v186, 0xbf59a7d5, v196 :: v_dual_add_f32 v25, v21, v25
	s_delay_alu instid0(VALU_DEP_4) | instskip(NEXT) | instid1(VALU_DEP_3)
	v_add_f32_e32 v71, v72, v71
	v_dual_fmamk_f32 v72, v104, 0x3dbcf732, v150 :: v_dual_add_f32 v69, v73, v69
	v_fmamk_f32 v73, v93, 0xbf763a35, v165
	v_mul_f32_e32 v214, 0xbf65296c, v170
	s_delay_alu instid0(VALU_DEP_3) | instskip(NEXT) | instid1(VALU_DEP_3)
	v_dual_mul_f32 v226, 0x3f3d2fb0, v76 :: v_dual_add_f32 v71, v72, v71
	v_dual_fmamk_f32 v72, v106, 0x3f6eb680, v152 :: v_dual_add_f32 v69, v73, v69
	v_fmamk_f32 v73, v91, 0xbeb8f4ab, v169
	v_dual_mul_f32 v216, 0x3f2c7751, v191 :: v_dual_add_f32 v25, v50, v25
	s_delay_alu instid0(VALU_DEP_3) | instskip(NEXT) | instid1(VALU_DEP_3)
	v_dual_add_f32 v71, v72, v71 :: v_dual_fmamk_f32 v72, v105, 0xbf1a4643, v154
	v_add_f32_e32 v73, v73, v69
	v_fma_f32 v31, 0xbe8c1d8e, v99, -v155
	s_delay_alu instid0(VALU_DEP_4) | instskip(SKIP_1) | instid1(VALU_DEP_4)
	v_add_f32_e32 v25, v48, v25
	v_fmac_f32_e32 v113, 0xbf06c442, v93
	v_dual_add_f32 v69, v72, v71 :: v_dual_add_f32 v72, v74, v73
	v_fmamk_f32 v73, v95, 0x3f06c442, v188
	v_fmamk_f32 v71, v98, 0x3dbcf732, v201
	v_dual_fmamk_f32 v74, v99, 0xbf7ba420, v202 :: v_dual_add_f32 v25, v46, v25
	v_mul_f32_e32 v46, 0xbf06c442, v194
	s_delay_alu instid0(VALU_DEP_4) | instskip(SKIP_4) | instid1(VALU_DEP_4)
	v_add_f32_e32 v72, v73, v72
	v_fmamk_f32 v73, v97, 0xbf4c4adb, v181
	v_add_f32_e32 v71, v63, v71
	v_mul_f32_e32 v33, 0xbf59a7d5, v193
	v_dual_add_f32 v25, v44, v25 :: v_dual_mul_f32 v44, 0xbe3c28d5, v195
	v_dual_add_f32 v72, v73, v72 :: v_dual_fmamk_f32 v73, v100, 0xbf2c7751, v182
	s_delay_alu instid0(VALU_DEP_4) | instskip(SKIP_2) | instid1(VALU_DEP_4)
	v_dual_add_f32 v71, v74, v71 :: v_dual_fmamk_f32 v74, v101, 0xbe8c1d8e, v205
	v_mul_f32_e32 v230, 0xbf59a7d5, v204
	v_add_f32_e32 v38, v38, v39
	v_dual_add_f32 v72, v73, v72 :: v_dual_fmamk_f32 v73, v96, 0x3f65296c, v200
	s_delay_alu instid0(VALU_DEP_4) | instskip(SKIP_1) | instid1(VALU_DEP_4)
	v_add_f32_e32 v71, v74, v71
	v_fmamk_f32 v74, v102, 0x3f6eb680, v209
	v_dual_mul_f32 v229, 0xbf7ba420, v203 :: v_dual_add_f32 v32, v32, v38
	s_delay_alu instid0(VALU_DEP_4) | instskip(SKIP_2) | instid1(VALU_DEP_3)
	v_add_f32_e32 v73, v64, v73
	v_mul_f32_e32 v227, 0x3dbcf732, v210
	v_dual_mul_f32 v211, 0xbf06c442, v195 :: v_dual_fmamk_f32 v212, v94, 0xbf06c442, v230
	v_dual_fmamk_f32 v38, v97, 0x3f06c442, v33 :: v_dual_add_f32 v73, v148, v73
	v_fmamk_f32 v148, v93, 0xbe3c28d5, v166
	v_add_f32_e32 v32, v34, v32
	v_dual_fmac_f32 v116, 0x3f65296c, v95 :: v_dual_add_f32 v25, v42, v25
	s_delay_alu instid0(VALU_DEP_3) | instskip(SKIP_1) | instid1(VALU_DEP_4)
	v_dual_fmac_f32 v182, 0x3f2c7751, v100 :: v_dual_add_f32 v73, v148, v73
	v_dual_fmamk_f32 v148, v91, 0xbf763a35, v167 :: v_dual_add_f32 v71, v74, v71
	v_dual_fmamk_f32 v74, v103, 0x3ee437d1, v220 :: v_dual_add_f32 v27, v24, v32
	s_delay_alu instid0(VALU_DEP_4) | instskip(NEXT) | instid1(VALU_DEP_3)
	v_add_f32_e32 v1, v1, v25
	v_add_f32_e32 v73, v148, v73
	v_fmac_f32_e32 v131, 0xbf763a35, v100
	s_delay_alu instid0(VALU_DEP_4) | instskip(NEXT) | instid1(VALU_DEP_4)
	v_dual_add_f32 v71, v74, v71 :: v_dual_fmamk_f32 v74, v104, 0xbf59a7d5, v222
	v_dual_add_f32 v26, v26, v27 :: v_dual_add_f32 v1, v3, v1
	v_fmac_f32_e32 v176, 0xbf65296c, v91
	v_fmac_f32_e32 v137, 0xbf06c442, v96
	s_delay_alu instid0(VALU_DEP_4) | instskip(SKIP_4) | instid1(VALU_DEP_4)
	v_add_f32_e32 v71, v74, v71
	v_fmamk_f32 v74, v106, 0xbf1a4643, v213
	v_dual_add_f32 v26, v28, v26 :: v_dual_fmamk_f32 v223, v99, 0x3dbcf732, v233
	v_fmac_f32_e32 v177, 0xbe3c28d5, v94
	v_fmac_f32_e32 v179, 0x3f7ee86f, v95
	v_dual_add_f32 v71, v74, v71 :: v_dual_fmamk_f32 v74, v105, 0x3f3d2fb0, v197
	v_fmamk_f32 v148, v94, 0xbf2c7751, v168
	v_dual_add_f32 v26, v30, v26 :: v_dual_fmac_f32 v175, 0x3f2c7751, v93
	v_fmac_f32_e32 v165, 0x3f763a35, v93
	s_delay_alu instid0(VALU_DEP_4) | instskip(NEXT) | instid1(VALU_DEP_4)
	v_add_f32_e32 v71, v74, v71
	v_dual_fmamk_f32 v74, v98, 0x3ee437d1, v214 :: v_dual_add_f32 v73, v148, v73
	v_fmamk_f32 v148, v95, 0x3eb8f4ab, v184
	v_add_f32_e32 v20, v20, v26
	v_mul_f32_e32 v231, 0xbf2c7751, v170
	s_delay_alu instid0(VALU_DEP_4) | instskip(NEXT) | instid1(VALU_DEP_4)
	v_add_f32_e32 v74, v63, v74
	v_dual_fmac_f32 v110, 0xbe3c28d5, v96 :: v_dual_add_f32 v73, v148, v73
	v_fmamk_f32 v148, v97, 0x3f7ee86f, v185
	v_add_f32_e32 v20, v49, v20
	s_delay_alu instid0(VALU_DEP_4) | instskip(SKIP_1) | instid1(VALU_DEP_4)
	v_add_f32_e32 v74, v198, v74
	v_fmamk_f32 v198, v101, 0xbf7ba420, v206
	v_dual_mul_f32 v36, 0xbf1a4643, v75 :: v_dual_add_f32 v73, v148, v73
	v_fmamk_f32 v148, v100, 0x3f06c442, v186
	v_fmamk_f32 v32, v99, 0x3f3d2fb0, v171
	s_delay_alu instid0(VALU_DEP_4) | instskip(SKIP_1) | instid1(VALU_DEP_4)
	v_add_f32_e32 v198, v198, v74
	v_mul_f32_e32 v24, 0xbf7ba420, v196
	v_dual_fmac_f32 v127, 0x3f7ee86f, v94 :: v_dual_add_f32 v74, v148, v73
	s_delay_alu instid0(VALU_DEP_3) | instskip(SKIP_2) | instid1(VALU_DEP_3)
	v_dual_fmamk_f32 v73, v96, 0x3f2c7751, v226 :: v_dual_add_f32 v148, v199, v198
	v_fmamk_f32 v198, v103, 0x3f3d2fb0, v216
	v_fmamk_f32 v199, v92, 0x3f7ee86f, v227
	v_dual_mul_f32 v204, 0xbe8c1d8e, v204 :: v_dual_add_f32 v73, v64, v73
	v_fmac_f32_e32 v112, 0x3eb8f4ab, v92
	s_delay_alu instid0(VALU_DEP_4)
	v_add_f32_e32 v148, v198, v148
	v_fmamk_f32 v198, v104, 0x3f6eb680, v217
	v_add_f32_e32 v20, v47, v20
	v_mul_f32_e32 v170, 0xbeb8f4ab, v170
	v_fmamk_f32 v39, v95, 0x3f4c4adb, v36
	v_fmamk_f32 v28, v100, 0x3e3c28d5, v24
	v_add_f32_e32 v148, v198, v148
	v_add_f32_e32 v20, v45, v20
	v_fmamk_f32 v198, v106, 0x3dbcf732, v218
	v_fmac_f32_e32 v227, 0xbf7ee86f, v92
	v_fmac_f32_e32 v185, 0xbf7ee86f, v97
	;; [unrolled: 1-line block ×3, first 2 shown]
	s_delay_alu instid0(VALU_DEP_4)
	v_dual_fmac_f32 v181, 0x3f4c4adb, v97 :: v_dual_add_f32 v148, v198, v148
	v_dual_fmamk_f32 v198, v105, 0xbf59a7d5, v211 :: v_dual_add_f32 v73, v199, v73
	v_fmamk_f32 v199, v93, 0x3f4c4adb, v228
	v_mul_f32_e32 v50, 0xbf4c4adb, v187
	v_add_f32_e32 v20, v43, v20
	v_fmac_f32_e32 v114, 0x3f2c7751, v91
	v_fmac_f32_e32 v189, 0xbf4c4adb, v92
	v_add_f32_e32 v73, v199, v73
	v_fmamk_f32 v199, v91, 0x3e3c28d5, v229
	v_dual_add_f32 v25, v41, v20 :: v_dual_fmac_f32 v132, 0xbf2c7751, v95
	v_fma_f32 v41, 0xbf59a7d5, v104, -v222
	v_fmac_f32_e32 v139, 0xbf4c4adb, v96
	s_delay_alu instid0(VALU_DEP_4)
	v_add_f32_e32 v199, v199, v73
	v_add_f32_e32 v73, v198, v148
	v_fmamk_f32 v148, v98, 0x3f3d2fb0, v231
	v_mul_f32_e32 v198, 0xbf4c4adb, v183
	v_add_f32_e32 v0, v0, v25
	v_dual_add_f32 v199, v212, v199 :: v_dual_fmamk_f32 v212, v95, 0xbf763a35, v232
	s_delay_alu instid0(VALU_DEP_4) | instskip(SKIP_4) | instid1(VALU_DEP_4)
	v_add_f32_e32 v221, v63, v148
	v_mul_f32_e32 v148, 0x3f6eb680, v196
	v_fmamk_f32 v225, v101, 0xbf1a4643, v198
	v_fmac_f32_e32 v122, 0x3f7ee86f, v100
	v_dual_add_f32 v212, v212, v199 :: v_dual_mul_f32 v199, 0xbe3c28d5, v190
	v_fmamk_f32 v234, v100, 0xbeb8f4ab, v148
	v_fmac_f32_e32 v124, 0xbf7ee86f, v93
	v_add_f32_e32 v0, v2, v0
	s_delay_alu instid0(VALU_DEP_4) | instskip(SKIP_3) | instid1(VALU_DEP_4)
	v_add_f32_e32 v224, v224, v212
	v_dual_mul_f32 v212, 0x3f06c442, v191 :: v_dual_add_f32 v223, v223, v221
	v_mul_f32_e32 v221, 0x3f6eb680, v76
	v_fmamk_f32 v235, v102, 0xbf7ba420, v199
	v_add_f32_e32 v76, v234, v224
	s_delay_alu instid0(VALU_DEP_4) | instskip(NEXT) | instid1(VALU_DEP_4)
	v_dual_fmamk_f32 v234, v103, 0xbf59a7d5, v212 :: v_dual_add_f32 v225, v225, v223
	v_fmamk_f32 v224, v96, 0x3eb8f4ab, v221
	v_mul_f32_e32 v223, 0x3f3d2fb0, v210
	v_mul_f32_e32 v210, 0x3f763a35, v187
	v_dual_fmac_f32 v169, 0x3eb8f4ab, v91 :: v_dual_fmac_f32 v148, 0x3eb8f4ab, v100
	v_add_f32_e32 v225, v235, v225
	v_add_f32_e32 v235, v64, v224
	v_fmamk_f32 v236, v92, 0x3f2c7751, v223
	v_mul_f32_e32 v224, 0x3ee437d1, v208
	v_fmamk_f32 v237, v104, 0xbe8c1d8e, v210
	v_mul_f32_e32 v208, 0x3f65296c, v194
	s_delay_alu instid0(VALU_DEP_4) | instskip(NEXT) | instid1(VALU_DEP_4)
	v_dual_fmac_f32 v130, 0x3f2c7751, v97 :: v_dual_add_f32 v235, v236, v235
	v_fmamk_f32 v236, v93, 0x3f65296c, v224
	v_dual_add_f32 v234, v234, v225 :: v_dual_mul_f32 v225, 0x3dbcf732, v203
	v_mul_f32_e32 v203, 0x3eb8f4ab, v195
	s_delay_alu instid0(VALU_DEP_3) | instskip(NEXT) | instid1(VALU_DEP_3)
	v_dual_fmac_f32 v134, 0x3f65296c, v100 :: v_dual_add_f32 v235, v236, v235
	v_dual_add_f32 v234, v237, v234 :: v_dual_fmamk_f32 v237, v106, 0x3ee437d1, v208
	s_delay_alu instid0(VALU_DEP_4)
	v_fmamk_f32 v236, v91, 0x3f7ee86f, v225
	v_fmac_f32_e32 v167, 0x3f763a35, v91
	v_fmac_f32_e32 v173, 0xbf763a35, v96
	;; [unrolled: 1-line block ×3, first 2 shown]
	v_add_f32_e32 v234, v237, v234
	v_fmamk_f32 v237, v105, 0x3f6eb680, v203
	v_dual_add_f32 v235, v236, v235 :: v_dual_fmamk_f32 v236, v94, 0x3f763a35, v204
	v_fmac_f32_e32 v123, 0x3f65296c, v92
	s_delay_alu instid0(VALU_DEP_3) | instskip(SKIP_1) | instid1(VALU_DEP_4)
	v_dual_fmac_f32 v192, 0xbf7ee86f, v96 :: v_dual_add_f32 v75, v237, v234
	v_fmac_f32_e32 v160, 0xbf4c4adb, v100
	v_dual_add_f32 v234, v236, v235 :: v_dual_fmac_f32 v129, 0xbeb8f4ab, v94
	v_fmac_f32_e32 v164, 0xbe3c28d5, v92
	v_fmac_f32_e32 v172, 0xbf65296c, v94
	;; [unrolled: 1-line block ×3, first 2 shown]
	s_delay_alu instid0(VALU_DEP_4) | instskip(SKIP_4) | instid1(VALU_DEP_4)
	v_add_f32_e32 v37, v39, v234
	v_fmamk_f32 v39, v98, 0x3f6eb680, v170
	v_fmac_f32_e32 v229, 0xbe3c28d5, v91
	v_fma_f32 v43, 0xbf1a4643, v99, -v215
	v_fmac_f32_e32 v188, 0xbf06c442, v95
	v_dual_add_f32 v34, v38, v37 :: v_dual_add_f32 v35, v63, v39
	v_mul_f32_e32 v37, 0xbf65296c, v183
	v_mul_f32_e32 v38, 0xbf7ee86f, v190
	;; [unrolled: 1-line block ×3, first 2 shown]
	s_delay_alu instid0(VALU_DEP_4) | instskip(SKIP_2) | instid1(VALU_DEP_4)
	v_add_f32_e32 v21, v28, v34
	v_add_f32_e32 v27, v32, v35
	v_dual_fmamk_f32 v29, v101, 0x3ee437d1, v37 :: v_dual_add_f32 v28, v64, v110
	v_fmamk_f32 v26, v103, 0xbe8c1d8e, v39
	v_fmac_f32_e32 v200, 0xbf65296c, v96
	s_delay_alu instid0(VALU_DEP_3) | instskip(NEXT) | instid1(VALU_DEP_4)
	v_dual_fmac_f32 v166, 0x3e3c28d5, v93 :: v_dual_add_f32 v27, v29, v27
	v_dual_fmamk_f32 v29, v102, 0x3dbcf732, v38 :: v_dual_add_f32 v28, v112, v28
	v_fmac_f32_e32 v226, 0xbf2c7751, v96
	v_fmac_f32_e32 v125, 0xbeb8f4ab, v93
	v_fma_f32 v34, 0xbf59a7d5, v99, -v180
	s_delay_alu instid0(VALU_DEP_4)
	v_add_f32_e32 v27, v29, v27
	v_fma_f32 v29, 0xbf7ba420, v104, -v163
	v_fmac_f32_e32 v168, 0x3f2c7751, v94
	v_fmac_f32_e32 v133, 0xbe3c28d5, v97
	v_fma_f32 v35, 0xbf7ba420, v99, -v202
	v_dual_add_f32 v26, v26, v27 :: v_dual_fmamk_f32 v27, v104, 0xbf1a4643, v50
	v_fmac_f32_e32 v219, 0x3f65296c, v97
	v_fma_f32 v47, 0x3dbcf732, v99, -v233
	v_fmac_f32_e32 v221, 0xbeb8f4ab, v96
	s_delay_alu instid0(VALU_DEP_4) | instskip(SKIP_4) | instid1(VALU_DEP_4)
	v_dual_fmac_f32 v223, 0xbf2c7751, v92 :: v_dual_add_f32 v26, v27, v26
	v_dual_add_f32 v27, v113, v28 :: v_dual_fmamk_f32 v28, v106, 0xbf59a7d5, v46
	v_fmac_f32_e32 v228, 0xbf4c4adb, v93
	v_fma_f32 v37, 0x3ee437d1, v101, -v37
	v_fmac_f32_e32 v225, 0xbf7ee86f, v91
	v_dual_add_f32 v27, v114, v27 :: v_dual_add_f32 v26, v28, v26
	v_fmamk_f32 v28, v105, 0xbf7ba420, v44
	v_fma_f32 v44, 0xbf7ba420, v105, -v44
	v_fmac_f32_e32 v184, 0xbeb8f4ab, v95
	s_delay_alu instid0(VALU_DEP_4)
	v_add_f32_e32 v27, v119, v27
	v_fma_f32 v38, 0x3dbcf732, v102, -v38
	v_add_f32_e32 v20, v28, v26
	v_fma_f32 v26, 0xbf7ba420, v98, -v118
	v_fma_f32 v28, 0x3ee437d1, v99, -v142
	v_add_f32_e32 v3, v116, v27
	v_dual_add_f32 v27, v64, v137 :: v_dual_fmac_f32 v230, 0x3f06c442, v94
	s_delay_alu instid0(VALU_DEP_4) | instskip(SKIP_1) | instid1(VALU_DEP_4)
	v_add_f32_e32 v25, v63, v26
	v_fma_f32 v26, 0x3f6eb680, v99, -v117
	v_add_f32_e32 v2, v115, v3
	s_delay_alu instid0(VALU_DEP_4)
	v_add_f32_e32 v27, v123, v27
	v_fmac_f32_e32 v232, 0x3f763a35, v95
	v_fma_f32 v48, 0x3f3d2fb0, v99, -v171
	v_add_f32_e32 v25, v26, v25
	v_fma_f32 v26, 0xbf59a7d5, v101, -v111
	v_add_f32_e32 v3, v122, v2
	v_fma_f32 v2, 0xbf59a7d5, v98, -v141
	v_dual_add_f32 v27, v124, v27 :: v_dual_fmac_f32 v186, 0xbf06c442, v100
	s_delay_alu instid0(VALU_DEP_4) | instskip(SKIP_1) | instid1(VALU_DEP_3)
	v_add_f32_e32 v25, v26, v25
	v_fma_f32 v26, 0x3f3d2fb0, v102, -v107
	v_dual_add_f32 v2, v63, v2 :: v_dual_add_f32 v27, v128, v27
	v_fmac_f32_e32 v224, 0xbf65296c, v93
	s_delay_alu instid0(VALU_DEP_3) | instskip(SKIP_1) | instid1(VALU_DEP_4)
	v_dual_fmac_f32 v204, 0xbf763a35, v94 :: v_dual_add_f32 v25, v26, v25
	v_fma_f32 v26, 0xbf1a4643, v103, -v108
	v_add_f32_e32 v2, v28, v2
	v_fma_f32 v28, 0x3dbcf732, v101, -v143
	v_dual_add_f32 v27, v129, v27 :: v_dual_fmac_f32 v24, 0xbe3c28d5, v100
	s_delay_alu instid0(VALU_DEP_4) | instskip(SKIP_1) | instid1(VALU_DEP_4)
	v_add_f32_e32 v25, v26, v25
	v_fma_f32 v26, 0x3ee437d1, v104, -v109
	v_add_f32_e32 v2, v28, v2
	v_fma_f32 v28, 0xbf1a4643, v102, -v146
	v_add_f32_e32 v27, v135, v27
	s_delay_alu instid0(VALU_DEP_4) | instskip(SKIP_1) | instid1(VALU_DEP_4)
	v_dual_fmac_f32 v36, 0xbf4c4adb, v95 :: v_dual_add_f32 v25, v26, v25
	v_fma_f32 v26, 0xbe8c1d8e, v106, -v120
	v_add_f32_e32 v2, v28, v2
	v_fma_f32 v28, 0x3f6eb680, v103, -v162
	v_fmac_f32_e32 v33, 0xbf06c442, v97
	s_delay_alu instid0(VALU_DEP_4) | instskip(SKIP_1) | instid1(VALU_DEP_4)
	v_add_f32_e32 v25, v26, v25
	v_fma_f32 v26, 0x3dbcf732, v105, -v121
	v_add_f32_e32 v28, v28, v2
	s_delay_alu instid0(VALU_DEP_2) | instskip(SKIP_1) | instid1(VALU_DEP_3)
	v_add_f32_e32 v2, v26, v25
	v_add_f32_e32 v25, v130, v27
	;; [unrolled: 1-line block ×3, first 2 shown]
	v_fma_f32 v28, 0x3f3d2fb0, v106, -v151
	s_delay_alu instid0(VALU_DEP_3) | instskip(SKIP_1) | instid1(VALU_DEP_3)
	v_dual_add_f32 v29, v64, v139 :: v_dual_add_f32 v26, v131, v25
	v_fma_f32 v25, 0xbf1a4643, v98, -v153
	v_add_f32_e32 v27, v28, v27
	v_fma_f32 v28, 0xbe8c1d8e, v105, -v138
	s_delay_alu instid0(VALU_DEP_4) | instskip(NEXT) | instid1(VALU_DEP_2)
	v_add_f32_e32 v29, v136, v29
	v_dual_add_f32 v30, v63, v25 :: v_dual_add_f32 v25, v28, v27
	s_delay_alu instid0(VALU_DEP_2) | instskip(SKIP_1) | instid1(VALU_DEP_3)
	v_add_f32_e32 v27, v125, v29
	v_fma_f32 v29, 0x3f6eb680, v101, -v144
	v_add_f32_e32 v28, v31, v30
	v_add_f32_e32 v30, v64, v173
	v_fma_f32 v31, 0xbf7ba420, v106, -v158
	s_delay_alu instid0(VALU_DEP_3) | instskip(SKIP_1) | instid1(VALU_DEP_2)
	v_dual_add_f32 v27, v126, v27 :: v_dual_add_f32 v28, v29, v28
	v_fma_f32 v29, 0xbf59a7d5, v102, -v145
	v_dual_add_f32 v30, v174, v30 :: v_dual_add_f32 v27, v127, v27
	s_delay_alu instid0(VALU_DEP_2) | instskip(SKIP_1) | instid1(VALU_DEP_3)
	v_add_f32_e32 v28, v29, v28
	v_fma_f32 v29, 0x3dbcf732, v103, -v156
	v_dual_add_f32 v30, v175, v30 :: v_dual_add_f32 v27, v132, v27
	s_delay_alu instid0(VALU_DEP_2) | instskip(SKIP_1) | instid1(VALU_DEP_3)
	v_add_f32_e32 v28, v29, v28
	v_fma_f32 v29, 0x3f3d2fb0, v104, -v157
	v_dual_add_f32 v30, v176, v30 :: v_dual_add_f32 v27, v133, v27
	s_delay_alu instid0(VALU_DEP_2) | instskip(NEXT) | instid1(VALU_DEP_2)
	v_add_f32_e32 v29, v29, v28
	v_add_f32_e32 v30, v177, v30
	s_delay_alu instid0(VALU_DEP_3) | instskip(SKIP_1) | instid1(VALU_DEP_4)
	v_add_f32_e32 v28, v134, v27
	v_fma_f32 v27, 0xbe8c1d8e, v98, -v178
	v_add_f32_e32 v29, v31, v29
	v_fma_f32 v31, 0x3ee437d1, v105, -v147
	v_add_f32_e32 v30, v179, v30
	s_delay_alu instid0(VALU_DEP_4) | instskip(NEXT) | instid1(VALU_DEP_3)
	v_add_f32_e32 v32, v63, v27
	v_add_f32_e32 v27, v31, v29
	s_delay_alu instid0(VALU_DEP_3) | instskip(NEXT) | instid1(VALU_DEP_3)
	v_add_f32_e32 v29, v159, v30
	v_add_f32_e32 v31, v34, v32
	v_fma_f32 v32, 0x3f3d2fb0, v101, -v161
	v_add_f32_e32 v34, v64, v192
	s_delay_alu instid0(VALU_DEP_4) | instskip(SKIP_1) | instid1(VALU_DEP_4)
	v_add_f32_e32 v30, v160, v29
	v_fma_f32 v29, 0x3dbcf732, v98, -v201
	v_add_f32_e32 v31, v32, v31
	v_fma_f32 v32, 0x3ee437d1, v102, -v140
	s_delay_alu instid0(VALU_DEP_3) | instskip(NEXT) | instid1(VALU_DEP_2)
	v_dual_add_f32 v34, v164, v34 :: v_dual_add_f32 v29, v63, v29
	v_add_f32_e32 v31, v32, v31
	v_fma_f32 v32, 0xbf7ba420, v103, -v149
	s_delay_alu instid0(VALU_DEP_3) | instskip(SKIP_1) | instid1(VALU_DEP_3)
	v_dual_add_f32 v34, v165, v34 :: v_dual_add_f32 v29, v35, v29
	v_fma_f32 v35, 0xbe8c1d8e, v101, -v205
	v_add_f32_e32 v31, v32, v31
	v_fma_f32 v32, 0x3dbcf732, v104, -v150
	s_delay_alu instid0(VALU_DEP_3) | instskip(SKIP_1) | instid1(VALU_DEP_3)
	v_dual_add_f32 v34, v169, v34 :: v_dual_add_f32 v29, v35, v29
	v_fma_f32 v35, 0x3f6eb680, v102, -v209
	;; [unrolled: 5-line block ×3, first 2 shown]
	v_add_f32_e32 v31, v32, v31
	v_fma_f32 v32, 0xbf1a4643, v105, -v154
	s_delay_alu instid0(VALU_DEP_3) | instskip(NEXT) | instid1(VALU_DEP_2)
	v_dual_add_f32 v34, v188, v34 :: v_dual_add_f32 v35, v35, v29
	v_add_f32_e32 v29, v32, v31
	s_delay_alu instid0(VALU_DEP_2) | instskip(NEXT) | instid1(VALU_DEP_3)
	v_add_f32_e32 v31, v181, v34
	v_add_f32_e32 v34, v41, v35
	v_fma_f32 v35, 0xbf1a4643, v106, -v213
	s_delay_alu instid0(VALU_DEP_3) | instskip(SKIP_1) | instid1(VALU_DEP_3)
	v_dual_add_f32 v41, v64, v200 :: v_dual_add_f32 v32, v182, v31
	v_fma_f32 v31, 0x3ee437d1, v98, -v214
	v_add_f32_e32 v34, v35, v34
	v_fma_f32 v35, 0x3f3d2fb0, v105, -v197
	s_delay_alu instid0(VALU_DEP_3) | instskip(NEXT) | instid1(VALU_DEP_1)
	v_dual_add_f32 v41, v189, v41 :: v_dual_add_f32 v42, v63, v31
	v_dual_add_f32 v31, v35, v34 :: v_dual_add_f32 v34, v166, v41
	v_fma_f32 v41, 0xbf7ba420, v101, -v206
	s_delay_alu instid0(VALU_DEP_3) | instskip(SKIP_2) | instid1(VALU_DEP_3)
	v_add_f32_e32 v35, v43, v42
	v_add_f32_e32 v42, v64, v226
	v_fma_f32 v43, 0x3dbcf732, v106, -v218
	v_dual_add_f32 v34, v167, v34 :: v_dual_add_f32 v35, v41, v35
	v_fma_f32 v41, 0xbe8c1d8e, v102, -v207
	s_delay_alu instid0(VALU_DEP_4) | instskip(NEXT) | instid1(VALU_DEP_2)
	v_add_f32_e32 v42, v227, v42
	v_dual_add_f32 v34, v168, v34 :: v_dual_add_f32 v35, v41, v35
	v_fma_f32 v41, 0x3f3d2fb0, v103, -v216
	s_delay_alu instid0(VALU_DEP_3) | instskip(NEXT) | instid1(VALU_DEP_2)
	v_add_f32_e32 v42, v228, v42
	v_dual_add_f32 v34, v184, v34 :: v_dual_add_f32 v35, v41, v35
	v_fma_f32 v41, 0x3f6eb680, v104, -v217
	s_delay_alu instid0(VALU_DEP_3) | instskip(NEXT) | instid1(VALU_DEP_3)
	v_add_f32_e32 v42, v229, v42
	v_add_f32_e32 v34, v185, v34
	s_delay_alu instid0(VALU_DEP_2) | instskip(NEXT) | instid1(VALU_DEP_2)
	v_dual_add_f32 v41, v41, v35 :: v_dual_add_f32 v42, v230, v42
	v_add_f32_e32 v35, v186, v34
	v_fma_f32 v34, 0x3f3d2fb0, v98, -v231
	s_delay_alu instid0(VALU_DEP_3) | instskip(SKIP_2) | instid1(VALU_DEP_4)
	v_add_f32_e32 v41, v43, v41
	v_fma_f32 v43, 0xbf59a7d5, v105, -v211
	v_add_f32_e32 v42, v232, v42
	v_add_f32_e32 v45, v63, v34
	s_delay_alu instid0(VALU_DEP_3) | instskip(NEXT) | instid1(VALU_DEP_3)
	v_add_f32_e32 v34, v43, v41
	v_add_f32_e32 v41, v219, v42
	v_fma_f32 v42, 0x3f6eb680, v98, -v170
	s_delay_alu instid0(VALU_DEP_4) | instskip(SKIP_1) | instid1(VALU_DEP_3)
	v_add_f32_e32 v43, v47, v45
	v_fma_f32 v45, 0xbf1a4643, v101, -v198
	v_dual_add_f32 v47, v64, v221 :: v_dual_add_f32 v42, v63, v42
	s_delay_alu instid0(VALU_DEP_2) | instskip(SKIP_1) | instid1(VALU_DEP_3)
	v_add_f32_e32 v43, v45, v43
	v_fma_f32 v45, 0xbf7ba420, v102, -v199
	v_dual_add_f32 v47, v223, v47 :: v_dual_add_f32 v42, v48, v42
	s_delay_alu instid0(VALU_DEP_2) | instskip(SKIP_1) | instid1(VALU_DEP_3)
	v_add_f32_e32 v43, v45, v43
	v_fma_f32 v45, 0xbf59a7d5, v103, -v212
	v_add_f32_e32 v47, v224, v47
	s_delay_alu instid0(VALU_DEP_4) | instskip(NEXT) | instid1(VALU_DEP_3)
	v_add_f32_e32 v37, v37, v42
	v_add_f32_e32 v42, v45, v43
	v_fma_f32 v43, 0xbe8c1d8e, v104, -v210
	s_delay_alu instid0(VALU_DEP_4) | instskip(NEXT) | instid1(VALU_DEP_4)
	v_add_f32_e32 v45, v225, v47
	v_add_f32_e32 v37, v38, v37
	v_fma_f32 v38, 0xbe8c1d8e, v103, -v39
	s_delay_alu instid0(VALU_DEP_4) | instskip(NEXT) | instid1(VALU_DEP_4)
	v_add_f32_e32 v39, v43, v42
	v_add_f32_e32 v43, v204, v45
	v_fma_f32 v42, 0x3ee437d1, v106, -v208
	s_delay_alu instid0(VALU_DEP_4) | instskip(SKIP_1) | instid1(VALU_DEP_4)
	v_add_f32_e32 v37, v38, v37
	v_fma_f32 v38, 0xbf1a4643, v104, -v50
	v_dual_add_f32 v36, v36, v43 :: v_dual_and_b32 v43, 0xffff, v82
	s_delay_alu instid0(VALU_DEP_4) | instskip(NEXT) | instid1(VALU_DEP_3)
	v_add_f32_e32 v39, v42, v39
	v_add_f32_e32 v37, v38, v37
	v_fma_f32 v38, 0xbf59a7d5, v106, -v46
	v_fma_f32 v42, 0x3f6eb680, v105, -v203
	v_add_f32_e32 v33, v33, v36
	v_lshl_add_u32 v43, v43, 3, v81
	s_delay_alu instid0(VALU_DEP_4) | instskip(NEXT) | instid1(VALU_DEP_4)
	v_add_f32_e32 v38, v38, v37
	v_dual_add_f32 v37, v148, v41 :: v_dual_add_f32 v36, v42, v39
	s_delay_alu instid0(VALU_DEP_4) | instskip(NEXT) | instid1(VALU_DEP_3)
	v_add_f32_e32 v39, v24, v33
	v_add_f32_e32 v38, v44, v38
	ds_store_2addr_b64 v43, v[0:1], v[20:21] offset1:1
	ds_store_2addr_b64 v43, v[75:76], v[73:74] offset0:2 offset1:3
	ds_store_2addr_b64 v43, v[71:72], v[69:70] offset0:4 offset1:5
	;; [unrolled: 1-line block ×7, first 2 shown]
	ds_store_b64 v43, v[38:39] offset:128
.LBB0_13:
	s_wait_alu 0xfffe
	s_or_b32 exec_lo, exec_lo, s0
	global_wb scope:SCOPE_SE
	s_wait_dscnt 0x0
	s_barrier_signal -1
	s_barrier_wait -1
	global_inv scope:SCOPE_SE
	ds_load_2addr_b64 v[0:3], v84 offset0:136 offset1:170
	ds_load_2addr_b64 v[20:23], v84 offset0:204 offset1:238
	s_wait_dscnt 0x1
	v_dual_mul_f32 v37, v52, v2 :: v_dual_add_nc_u32 v38, 0x800, v84
	ds_load_2addr_b64 v[24:27], v38 offset0:16 offset1:50
	ds_load_2addr_b64 v[28:31], v84 offset1:34
	ds_load_2addr_b64 v[32:35], v84 offset0:68 offset1:102
	s_wait_dscnt 0x3
	v_dual_mul_f32 v36, v52, v3 :: v_dual_mul_f32 v43, v58, v22
	v_dual_mul_f32 v39, v60, v21 :: v_dual_mul_f32 v42, v58, v23
	s_delay_alu instid0(VALU_DEP_2) | instskip(SKIP_1) | instid1(VALU_DEP_3)
	v_dual_mul_f32 v41, v60, v20 :: v_dual_fmac_f32 v36, v51, v2
	v_fma_f32 v3, v51, v3, -v37
	v_dual_fmac_f32 v39, v59, v20 :: v_dual_fmac_f32 v42, v57, v22
	s_delay_alu instid0(VALU_DEP_3)
	v_fma_f32 v21, v59, v21, -v41
	v_fma_f32 v23, v57, v23, -v43
	global_wb scope:SCOPE_SE
	s_wait_dscnt 0x0
	s_barrier_signal -1
	s_barrier_wait -1
	global_inv scope:SCOPE_SE
	v_dual_mul_f32 v37, v56, v25 :: v_dual_mul_f32 v20, v54, v26
	v_dual_mul_f32 v2, v56, v24 :: v_dual_mul_f32 v41, v54, v27
	v_sub_f32_e32 v21, v31, v21
	s_delay_alu instid0(VALU_DEP_3) | instskip(NEXT) | instid1(VALU_DEP_4)
	v_fmac_f32_e32 v37, v55, v24
	v_fma_f32 v44, v53, v27, -v20
	v_sub_f32_e32 v20, v30, v39
	v_fma_f32 v43, v55, v25, -v2
	v_dual_fmac_f32 v41, v53, v26 :: v_dual_sub_f32 v2, v28, v36
	v_dual_sub_f32 v3, v29, v3 :: v_dual_sub_f32 v22, v32, v42
	v_sub_f32_e32 v23, v33, v23
	v_fma_f32 v26, v30, 2.0, -v20
	v_sub_f32_e32 v30, v34, v37
	v_fma_f32 v27, v31, 2.0, -v21
	v_dual_sub_f32 v31, v35, v43 :: v_dual_sub_f32 v36, v0, v41
	v_sub_f32_e32 v37, v1, v44
	v_fma_f32 v24, v28, 2.0, -v2
	v_fma_f32 v25, v29, 2.0, -v3
	;; [unrolled: 1-line block ×8, first 2 shown]
	ds_store_2addr_b64 v87, v[24:25], v[2:3] offset1:17
	ds_store_2addr_b64 v90, v[26:27], v[20:21] offset1:17
	;; [unrolled: 1-line block ×5, first 2 shown]
	global_wb scope:SCOPE_SE
	s_wait_dscnt 0x0
	s_barrier_signal -1
	s_barrier_wait -1
	global_inv scope:SCOPE_SE
	ds_load_2addr_b64 v[0:3], v84 offset1:34
	ds_load_2addr_b64 v[20:23], v84 offset0:68 offset1:102
	ds_load_2addr_b64 v[24:27], v84 offset0:136 offset1:170
	ds_load_2addr_b64 v[28:31], v84 offset0:204 offset1:238
	ds_load_2addr_b64 v[32:35], v38 offset0:16 offset1:50
	s_wait_dscnt 0x4
	v_mul_f32_e32 v36, v17, v3
	v_mul_f32_e32 v17, v17, v2
	s_wait_dscnt 0x3
	s_delay_alu instid0(VALU_DEP_2) | instskip(SKIP_1) | instid1(VALU_DEP_3)
	v_dual_mul_f32 v37, v19, v21 :: v_dual_fmac_f32 v36, v16, v2
	v_mul_f32_e32 v2, v19, v20
	v_fma_f32 v3, v16, v3, -v17
	s_delay_alu instid0(VALU_DEP_3)
	v_dual_mul_f32 v16, v13, v23 :: v_dual_fmac_f32 v37, v18, v20
	s_wait_dscnt 0x2
	v_mul_f32_e32 v17, v15, v25
	v_fma_f32 v2, v18, v21, -v2
	s_wait_dscnt 0x1
	v_dual_mul_f32 v18, v5, v31 :: v_dual_mul_f32 v15, v15, v24
	v_fmac_f32_e32 v16, v12, v22
	v_dual_mul_f32 v13, v13, v22 :: v_dual_add_f32 v20, v0, v37
	s_delay_alu instid0(VALU_DEP_3) | instskip(NEXT) | instid1(VALU_DEP_4)
	v_dual_fmac_f32 v17, v14, v24 :: v_dual_fmac_f32 v18, v4, v30
	v_fma_f32 v14, v14, v25, -v15
	v_mul_f32_e32 v15, v11, v29
	v_mul_f32_e32 v11, v11, v28
	v_fma_f32 v12, v12, v23, -v13
	s_wait_dscnt 0x0
	v_mul_f32_e32 v25, v62, v34
	v_fmac_f32_e32 v15, v10, v28
	v_fma_f32 v10, v10, v29, -v11
	v_mul_f32_e32 v13, v9, v27
	v_mul_f32_e32 v9, v9, v26
	s_delay_alu instid0(VALU_DEP_3) | instskip(NEXT) | instid1(VALU_DEP_3)
	v_add_f32_e32 v28, v14, v10
	v_fmac_f32_e32 v13, v8, v26
	s_delay_alu instid0(VALU_DEP_3) | instskip(SKIP_4) | instid1(VALU_DEP_4)
	v_fma_f32 v8, v8, v27, -v9
	v_mul_f32_e32 v9, v7, v32
	v_mul_f32_e32 v7, v7, v33
	v_add_f32_e32 v27, v1, v2
	v_mul_f32_e32 v19, v62, v35
	v_fma_f32 v9, v6, v33, -v9
	s_delay_alu instid0(VALU_DEP_4) | instskip(SKIP_2) | instid1(VALU_DEP_3)
	v_fmac_f32_e32 v7, v6, v32
	v_mul_f32_e32 v5, v5, v30
	v_sub_f32_e32 v6, v14, v10
	v_add_f32_e32 v24, v37, v7
	s_delay_alu instid0(VALU_DEP_3) | instskip(SKIP_2) | instid1(VALU_DEP_2)
	v_fma_f32 v4, v4, v31, -v5
	v_add_f32_e32 v5, v20, v17
	v_dual_sub_f32 v22, v37, v17 :: v_dual_sub_f32 v23, v7, v15
	v_add_f32_e32 v5, v5, v15
	s_delay_alu instid0(VALU_DEP_2) | instskip(SKIP_1) | instid1(VALU_DEP_3)
	v_add_f32_e32 v22, v22, v23
	v_fma_f32 v23, -0.5, v24, v0
	v_add_f32_e32 v24, v5, v7
	v_add_f32_e32 v11, v17, v15
	v_sub_f32_e32 v26, v15, v7
	v_sub_f32_e32 v7, v37, v7
	;; [unrolled: 1-line block ×4, first 2 shown]
	v_fma_f32 v11, -0.5, v11, v0
	v_fma_f32 v0, v61, v35, -v25
	v_fmamk_f32 v25, v6, 0x3f737871, v23
	v_add_f32_e32 v5, v5, v26
	v_fmac_f32_e32 v23, 0xbf737871, v6
	v_fma_f32 v26, -0.5, v28, v1
	v_sub_f32_e32 v21, v2, v9
	s_delay_alu instid0(VALU_DEP_1) | instskip(SKIP_3) | instid1(VALU_DEP_4)
	v_dual_sub_f32 v17, v2, v14 :: v_dual_fmamk_f32 v20, v21, 0xbf737871, v11
	v_fmac_f32_e32 v11, 0x3f737871, v21
	v_fmac_f32_e32 v25, 0xbf167918, v21
	;; [unrolled: 1-line block ×4, first 2 shown]
	s_delay_alu instid0(VALU_DEP_3) | instskip(NEXT) | instid1(VALU_DEP_3)
	v_fmac_f32_e32 v25, 0x3e9e377a, v5
	v_fmac_f32_e32 v23, 0x3e9e377a, v5
	v_sub_f32_e32 v5, v10, v9
	v_fmac_f32_e32 v11, 0x3f167918, v6
	v_fmac_f32_e32 v20, 0x3e9e377a, v22
	v_add_f32_e32 v6, v27, v14
	v_fmac_f32_e32 v19, v61, v34
	v_sub_f32_e32 v27, v9, v10
	v_dual_fmac_f32 v11, 0x3e9e377a, v22 :: v_dual_add_f32 v22, v2, v9
	v_sub_f32_e32 v2, v14, v2
	v_add_f32_e32 v6, v6, v10
	s_delay_alu instid0(VALU_DEP_3) | instskip(NEXT) | instid1(VALU_DEP_3)
	v_fma_f32 v22, -0.5, v22, v1
	v_dual_add_f32 v1, v17, v27 :: v_dual_add_f32 v2, v2, v5
	s_delay_alu instid0(VALU_DEP_3) | instskip(NEXT) | instid1(VALU_DEP_3)
	v_add_f32_e32 v28, v6, v9
	v_dual_add_f32 v6, v36, v16 :: v_dual_fmamk_f32 v17, v15, 0xbf737871, v22
	v_fmac_f32_e32 v22, 0x3f737871, v15
	v_sub_f32_e32 v27, v18, v19
	s_delay_alu instid0(VALU_DEP_3) | instskip(NEXT) | instid1(VALU_DEP_3)
	v_dual_add_f32 v5, v6, v13 :: v_dual_add_f32 v6, v13, v18
	v_fmac_f32_e32 v22, 0xbf167918, v7
	s_delay_alu instid0(VALU_DEP_1) | instskip(SKIP_1) | instid1(VALU_DEP_1)
	v_fmac_f32_e32 v22, 0x3e9e377a, v2
	v_fmac_f32_e32 v17, 0x3f167918, v7
	v_dual_fmac_f32 v17, 0x3e9e377a, v2 :: v_dual_sub_f32 v2, v16, v13
	v_fmamk_f32 v21, v7, 0x3f737871, v26
	v_fmac_f32_e32 v26, 0xbf737871, v7
	s_delay_alu instid0(VALU_DEP_2) | instskip(NEXT) | instid1(VALU_DEP_2)
	v_fmac_f32_e32 v21, 0x3f167918, v15
	v_dual_fmac_f32 v26, 0xbf167918, v15 :: v_dual_sub_f32 v15, v13, v16
	v_sub_f32_e32 v13, v13, v18
	v_sub_f32_e32 v7, v12, v0
	s_delay_alu instid0(VALU_DEP_4) | instskip(NEXT) | instid1(VALU_DEP_4)
	v_fmac_f32_e32 v21, 0x3e9e377a, v1
	v_dual_fmac_f32 v26, 0x3e9e377a, v1 :: v_dual_add_f32 v1, v5, v18
	v_fma_f32 v5, -0.5, v6, v36
	v_add_f32_e32 v6, v16, v19
	s_delay_alu instid0(VALU_DEP_3) | instskip(NEXT) | instid1(VALU_DEP_2)
	v_dual_add_f32 v10, v1, v19 :: v_dual_sub_f32 v1, v8, v4
	v_dual_fmac_f32 v36, -0.5, v6 :: v_dual_fmamk_f32 v9, v7, 0xbf737871, v5
	v_dual_sub_f32 v6, v19, v18 :: v_dual_fmac_f32 v5, 0x3f737871, v7
	s_delay_alu instid0(VALU_DEP_2) | instskip(NEXT) | instid1(VALU_DEP_2)
	v_fmamk_f32 v14, v1, 0x3f737871, v36
	v_dual_fmac_f32 v9, 0xbf167918, v1 :: v_dual_add_f32 v2, v2, v6
	s_delay_alu instid0(VALU_DEP_3)
	v_fmac_f32_e32 v5, 0x3f167918, v1
	v_fmac_f32_e32 v36, 0xbf737871, v1
	v_add_f32_e32 v6, v15, v27
	v_add_f32_e32 v15, v3, v12
	v_fmac_f32_e32 v9, 0x3e9e377a, v2
	v_add_f32_e32 v1, v8, v4
	v_dual_fmac_f32 v5, 0x3e9e377a, v2 :: v_dual_add_f32 v2, v12, v0
	s_delay_alu instid0(VALU_DEP_2) | instskip(NEXT) | instid1(VALU_DEP_2)
	v_fma_f32 v1, -0.5, v1, v3
	v_dual_fmac_f32 v3, -0.5, v2 :: v_dual_sub_f32 v2, v12, v8
	v_sub_f32_e32 v12, v8, v12
	s_delay_alu instid0(VALU_DEP_2) | instskip(SKIP_4) | instid1(VALU_DEP_4)
	v_fmamk_f32 v18, v13, 0xbf737871, v3
	v_fmac_f32_e32 v14, 0xbf167918, v7
	v_fmac_f32_e32 v36, 0x3f167918, v7
	v_sub_f32_e32 v7, v16, v19
	v_fmac_f32_e32 v3, 0x3f737871, v13
	v_fmac_f32_e32 v14, 0x3e9e377a, v6
	s_delay_alu instid0(VALU_DEP_4) | instskip(SKIP_2) | instid1(VALU_DEP_2)
	v_fmac_f32_e32 v36, 0x3e9e377a, v6
	v_sub_f32_e32 v6, v0, v4
	v_dual_sub_f32 v19, v4, v0 :: v_dual_fmac_f32 v18, 0x3f167918, v7
	v_add_f32_e32 v2, v2, v6
	s_delay_alu instid0(VALU_DEP_2) | instskip(NEXT) | instid1(VALU_DEP_1)
	v_add_f32_e32 v6, v12, v19
	v_fmac_f32_e32 v18, 0x3e9e377a, v6
	s_delay_alu instid0(VALU_DEP_1) | instskip(SKIP_3) | instid1(VALU_DEP_4)
	v_mul_f32_e32 v30, 0x3e9e377a, v18
	v_fmamk_f32 v16, v7, 0x3f737871, v1
	v_fmac_f32_e32 v1, 0xbf737871, v7
	v_fmac_f32_e32 v3, 0xbf167918, v7
	;; [unrolled: 1-line block ×3, first 2 shown]
	s_delay_alu instid0(VALU_DEP_3) | instskip(NEXT) | instid1(VALU_DEP_3)
	v_fmac_f32_e32 v1, 0xbf167918, v13
	v_fmac_f32_e32 v3, 0x3e9e377a, v6
	s_delay_alu instid0(VALU_DEP_2) | instskip(NEXT) | instid1(VALU_DEP_1)
	v_fmac_f32_e32 v1, 0x3e9e377a, v2
	v_dual_mul_f32 v32, 0xbf4f1bbd, v1 :: v_dual_add_f32 v7, v15, v8
	s_delay_alu instid0(VALU_DEP_3) | instskip(NEXT) | instid1(VALU_DEP_2)
	v_mul_f32_e32 v15, 0xbf737871, v3
	v_dual_mul_f32 v27, 0xbf167918, v1 :: v_dual_add_f32 v4, v7, v4
	s_delay_alu instid0(VALU_DEP_2) | instskip(NEXT) | instid1(VALU_DEP_1)
	v_fmac_f32_e32 v15, 0xbe9e377a, v36
	v_dual_add_f32 v19, v4, v0 :: v_dual_add_f32 v6, v23, v15
	s_delay_alu instid0(VALU_DEP_3) | instskip(SKIP_2) | instid1(VALU_DEP_4)
	v_fmac_f32_e32 v27, 0xbf4f1bbd, v5
	v_fmac_f32_e32 v32, 0x3f167918, v5
	v_add_f32_e32 v0, v24, v10
	v_add_f32_e32 v1, v28, v19
	s_delay_alu instid0(VALU_DEP_4) | instskip(SKIP_4) | instid1(VALU_DEP_4)
	v_dual_add_f32 v5, v17, v30 :: v_dual_add_f32 v8, v11, v27
	v_fmac_f32_e32 v16, 0x3f167918, v13
	v_mul_f32_e32 v13, 0xbf737871, v18
	v_sub_f32_e32 v10, v24, v10
	v_sub_f32_e32 v18, v11, v27
	v_dual_sub_f32 v11, v28, v19 :: v_dual_fmac_f32 v16, 0x3e9e377a, v2
	s_delay_alu instid0(VALU_DEP_4) | instskip(SKIP_1) | instid1(VALU_DEP_3)
	v_fmac_f32_e32 v13, 0x3e9e377a, v14
	v_sub_f32_e32 v19, v26, v32
	v_mul_f32_e32 v12, 0xbf167918, v16
	v_dual_mul_f32 v29, 0x3f4f1bbd, v16 :: v_dual_sub_f32 v16, v23, v15
	s_delay_alu instid0(VALU_DEP_4) | instskip(NEXT) | instid1(VALU_DEP_3)
	v_dual_mul_f32 v31, 0xbe9e377a, v3 :: v_dual_add_f32 v4, v25, v13
	v_fmac_f32_e32 v12, 0x3f4f1bbd, v9
	s_delay_alu instid0(VALU_DEP_3) | instskip(SKIP_1) | instid1(VALU_DEP_4)
	v_fmac_f32_e32 v29, 0x3f167918, v9
	v_add_f32_e32 v9, v26, v32
	v_dual_fmac_f32 v31, 0x3f737871, v36 :: v_dual_sub_f32 v14, v25, v13
	s_delay_alu instid0(VALU_DEP_3) | instskip(SKIP_2) | instid1(VALU_DEP_4)
	v_dual_add_f32 v2, v20, v12 :: v_dual_add_f32 v3, v21, v29
	v_sub_f32_e32 v12, v20, v12
	v_add_nc_u32_e32 v20, 0x400, v83
	v_add_f32_e32 v7, v22, v31
	v_sub_f32_e32 v13, v21, v29
	v_sub_f32_e32 v15, v17, v30
	;; [unrolled: 1-line block ×3, first 2 shown]
	ds_store_b64 v85, v[0:1]
	ds_store_2addr_b64 v83, v[2:3], v[4:5] offset0:34 offset1:68
	ds_store_2addr_b64 v83, v[6:7], v[8:9] offset0:102 offset1:136
	;; [unrolled: 1-line block ×4, first 2 shown]
	ds_store_b64 v83, v[18:19] offset:2448
	global_wb scope:SCOPE_SE
	s_wait_dscnt 0x0
	s_barrier_signal -1
	s_barrier_wait -1
	global_inv scope:SCOPE_SE
	s_and_b32 exec_lo, exec_lo, vcc_lo
	s_cbranch_execz .LBB0_15
; %bb.14:
	global_load_b64 v[0:1], v78, s[12:13]
	ds_load_b64 v[2:3], v85
	v_mad_co_u64_u32 v[6:7], null, s4, v80, 0
	s_mov_b32 s0, 0x18181818
	s_mov_b32 s1, 0x3f681818
	s_mul_u64 s[2:3], s[4:5], 0xa0
	s_wait_loadcnt_dscnt 0x0
	v_mul_f32_e32 v4, v3, v1
	v_mul_f32_e32 v1, v2, v1
	s_delay_alu instid0(VALU_DEP_2) | instskip(NEXT) | instid1(VALU_DEP_2)
	v_fmac_f32_e32 v4, v2, v0
	v_fma_f32 v2, v0, v3, -v1
	s_delay_alu instid0(VALU_DEP_2) | instskip(NEXT) | instid1(VALU_DEP_2)
	v_cvt_f64_f32_e32 v[0:1], v4
	v_cvt_f64_f32_e32 v[2:3], v2
	v_mad_co_u64_u32 v[4:5], null, s6, v40, 0
	s_wait_alu 0xfffe
	s_delay_alu instid0(VALU_DEP_3) | instskip(NEXT) | instid1(VALU_DEP_3)
	v_mul_f64_e32 v[0:1], s[0:1], v[0:1]
	v_mul_f64_e32 v[2:3], s[0:1], v[2:3]
	s_delay_alu instid0(VALU_DEP_2) | instskip(NEXT) | instid1(VALU_DEP_2)
	v_cvt_f32_f64_e32 v0, v[0:1]
	v_cvt_f32_f64_e32 v1, v[2:3]
	v_dual_mov_b32 v3, v7 :: v_dual_mov_b32 v2, v5
	s_delay_alu instid0(VALU_DEP_1) | instskip(SKIP_1) | instid1(VALU_DEP_2)
	v_mad_co_u64_u32 v[7:8], null, s7, v40, v[2:3]
	v_mad_co_u64_u32 v[2:3], null, s5, v80, v[3:4]
	v_mov_b32_e32 v5, v7
	s_delay_alu instid0(VALU_DEP_2) | instskip(NEXT) | instid1(VALU_DEP_2)
	v_mov_b32_e32 v7, v2
	v_lshlrev_b64_e32 v[2:3], 3, v[4:5]
	s_delay_alu instid0(VALU_DEP_2) | instskip(NEXT) | instid1(VALU_DEP_2)
	v_lshlrev_b64_e32 v[4:5], 3, v[6:7]
	v_add_co_u32 v8, vcc_lo, s14, v2
	s_delay_alu instid0(VALU_DEP_3) | instskip(NEXT) | instid1(VALU_DEP_2)
	v_add_co_ci_u32_e32 v9, vcc_lo, s15, v3, vcc_lo
	v_add_co_u32 v4, vcc_lo, v8, v4
	s_wait_alu 0xfffd
	s_delay_alu instid0(VALU_DEP_2)
	v_add_co_ci_u32_e32 v5, vcc_lo, v9, v5, vcc_lo
	global_store_b64 v[4:5], v[0:1], off
	global_load_b64 v[6:7], v78, s[12:13] offset:160
	ds_load_2addr_b64 v[0:3], v83 offset0:20 offset1:40
	v_add_co_u32 v4, vcc_lo, v4, s2
	s_wait_alu 0xfffd
	v_add_co_ci_u32_e32 v5, vcc_lo, s3, v5, vcc_lo
	s_wait_loadcnt_dscnt 0x0
	v_mul_f32_e32 v10, v1, v7
	v_mul_f32_e32 v7, v0, v7
	s_delay_alu instid0(VALU_DEP_2) | instskip(NEXT) | instid1(VALU_DEP_2)
	v_fmac_f32_e32 v10, v0, v6
	v_fma_f32 v6, v6, v1, -v7
	s_delay_alu instid0(VALU_DEP_2) | instskip(NEXT) | instid1(VALU_DEP_2)
	v_cvt_f64_f32_e32 v[0:1], v10
	v_cvt_f64_f32_e32 v[6:7], v6
	s_delay_alu instid0(VALU_DEP_2) | instskip(NEXT) | instid1(VALU_DEP_2)
	v_mul_f64_e32 v[0:1], s[0:1], v[0:1]
	v_mul_f64_e32 v[6:7], s[0:1], v[6:7]
	s_delay_alu instid0(VALU_DEP_2) | instskip(NEXT) | instid1(VALU_DEP_2)
	v_cvt_f32_f64_e32 v0, v[0:1]
	v_cvt_f32_f64_e32 v1, v[6:7]
	global_store_b64 v[4:5], v[0:1], off
	global_load_b64 v[0:1], v78, s[12:13] offset:320
	v_add_co_u32 v4, vcc_lo, v4, s2
	s_wait_alu 0xfffd
	v_add_co_ci_u32_e32 v5, vcc_lo, s3, v5, vcc_lo
	s_wait_loadcnt 0x0
	v_mul_f32_e32 v6, v3, v1
	v_mul_f32_e32 v1, v2, v1
	s_delay_alu instid0(VALU_DEP_2) | instskip(NEXT) | instid1(VALU_DEP_2)
	v_fmac_f32_e32 v6, v2, v0
	v_fma_f32 v2, v0, v3, -v1
	s_delay_alu instid0(VALU_DEP_2) | instskip(NEXT) | instid1(VALU_DEP_2)
	v_cvt_f64_f32_e32 v[0:1], v6
	v_cvt_f64_f32_e32 v[2:3], v2
	s_delay_alu instid0(VALU_DEP_2) | instskip(NEXT) | instid1(VALU_DEP_2)
	v_mul_f64_e32 v[0:1], s[0:1], v[0:1]
	v_mul_f64_e32 v[2:3], s[0:1], v[2:3]
	s_delay_alu instid0(VALU_DEP_2) | instskip(NEXT) | instid1(VALU_DEP_2)
	v_cvt_f32_f64_e32 v0, v[0:1]
	v_cvt_f32_f64_e32 v1, v[2:3]
	global_store_b64 v[4:5], v[0:1], off
	global_load_b64 v[6:7], v78, s[12:13] offset:480
	ds_load_2addr_b64 v[0:3], v83 offset0:60 offset1:80
	v_add_co_u32 v4, vcc_lo, v4, s2
	s_wait_alu 0xfffd
	v_add_co_ci_u32_e32 v5, vcc_lo, s3, v5, vcc_lo
	s_wait_loadcnt_dscnt 0x0
	v_mul_f32_e32 v10, v1, v7
	v_mul_f32_e32 v7, v0, v7
	s_delay_alu instid0(VALU_DEP_2) | instskip(NEXT) | instid1(VALU_DEP_2)
	v_fmac_f32_e32 v10, v0, v6
	v_fma_f32 v6, v6, v1, -v7
	s_delay_alu instid0(VALU_DEP_2) | instskip(NEXT) | instid1(VALU_DEP_2)
	v_cvt_f64_f32_e32 v[0:1], v10
	v_cvt_f64_f32_e32 v[6:7], v6
	s_delay_alu instid0(VALU_DEP_2) | instskip(NEXT) | instid1(VALU_DEP_2)
	v_mul_f64_e32 v[0:1], s[0:1], v[0:1]
	v_mul_f64_e32 v[6:7], s[0:1], v[6:7]
	s_delay_alu instid0(VALU_DEP_2) | instskip(NEXT) | instid1(VALU_DEP_2)
	v_cvt_f32_f64_e32 v0, v[0:1]
	v_cvt_f32_f64_e32 v1, v[6:7]
	global_store_b64 v[4:5], v[0:1], off
	global_load_b64 v[0:1], v78, s[12:13] offset:640
	v_add_co_u32 v4, vcc_lo, v4, s2
	s_wait_alu 0xfffd
	v_add_co_ci_u32_e32 v5, vcc_lo, s3, v5, vcc_lo
	s_wait_loadcnt 0x0
	v_mul_f32_e32 v6, v3, v1
	v_mul_f32_e32 v1, v2, v1
	s_delay_alu instid0(VALU_DEP_2) | instskip(NEXT) | instid1(VALU_DEP_2)
	v_fmac_f32_e32 v6, v2, v0
	v_fma_f32 v2, v0, v3, -v1
	s_delay_alu instid0(VALU_DEP_2) | instskip(NEXT) | instid1(VALU_DEP_2)
	v_cvt_f64_f32_e32 v[0:1], v6
	v_cvt_f64_f32_e32 v[2:3], v2
	s_delay_alu instid0(VALU_DEP_2) | instskip(NEXT) | instid1(VALU_DEP_2)
	v_mul_f64_e32 v[0:1], s[0:1], v[0:1]
	v_mul_f64_e32 v[2:3], s[0:1], v[2:3]
	s_delay_alu instid0(VALU_DEP_2) | instskip(NEXT) | instid1(VALU_DEP_2)
	v_cvt_f32_f64_e32 v0, v[0:1]
	v_cvt_f32_f64_e32 v1, v[2:3]
	;; [unrolled: 41-line block ×3, first 2 shown]
	global_store_b64 v[4:5], v[0:1], off
	global_load_b64 v[6:7], v78, s[12:13] offset:1120
	ds_load_2addr_b64 v[0:3], v83 offset0:140 offset1:160
	v_add_co_u32 v4, vcc_lo, v4, s2
	s_wait_alu 0xfffd
	v_add_co_ci_u32_e32 v5, vcc_lo, s3, v5, vcc_lo
	s_wait_loadcnt_dscnt 0x0
	v_mul_f32_e32 v10, v1, v7
	v_mul_f32_e32 v7, v0, v7
	s_delay_alu instid0(VALU_DEP_2) | instskip(NEXT) | instid1(VALU_DEP_2)
	v_fmac_f32_e32 v10, v0, v6
	v_fma_f32 v6, v6, v1, -v7
	s_delay_alu instid0(VALU_DEP_2) | instskip(NEXT) | instid1(VALU_DEP_2)
	v_cvt_f64_f32_e32 v[0:1], v10
	v_cvt_f64_f32_e32 v[6:7], v6
	s_delay_alu instid0(VALU_DEP_2) | instskip(NEXT) | instid1(VALU_DEP_2)
	v_mul_f64_e32 v[0:1], s[0:1], v[0:1]
	v_mul_f64_e32 v[6:7], s[0:1], v[6:7]
	s_delay_alu instid0(VALU_DEP_2) | instskip(NEXT) | instid1(VALU_DEP_2)
	v_cvt_f32_f64_e32 v0, v[0:1]
	v_cvt_f32_f64_e32 v1, v[6:7]
	global_store_b64 v[4:5], v[0:1], off
	global_load_b64 v[0:1], v78, s[12:13] offset:1280
	v_mad_co_u64_u32 v[4:5], null, 0x140, s4, v[4:5]
	s_wait_loadcnt 0x0
	v_mul_f32_e32 v6, v3, v1
	v_mul_f32_e32 v1, v2, v1
	s_delay_alu instid0(VALU_DEP_2) | instskip(NEXT) | instid1(VALU_DEP_2)
	v_fmac_f32_e32 v6, v2, v0
	v_fma_f32 v2, v0, v3, -v1
	s_delay_alu instid0(VALU_DEP_2) | instskip(NEXT) | instid1(VALU_DEP_2)
	v_cvt_f64_f32_e32 v[0:1], v6
	v_cvt_f64_f32_e32 v[2:3], v2
	v_mad_co_u64_u32 v[6:7], null, s4, v79, 0
	s_delay_alu instid0(VALU_DEP_3) | instskip(NEXT) | instid1(VALU_DEP_3)
	v_mul_f64_e32 v[0:1], s[0:1], v[0:1]
	v_mul_f64_e32 v[2:3], s[0:1], v[2:3]
	s_delay_alu instid0(VALU_DEP_2) | instskip(NEXT) | instid1(VALU_DEP_2)
	v_cvt_f32_f64_e32 v0, v[0:1]
	v_cvt_f32_f64_e32 v1, v[2:3]
	v_mov_b32_e32 v2, v7
	s_delay_alu instid0(VALU_DEP_1) | instskip(NEXT) | instid1(VALU_DEP_1)
	v_mad_co_u64_u32 v[2:3], null, s5, v79, v[2:3]
	v_mov_b32_e32 v7, v2
	s_delay_alu instid0(VALU_DEP_1) | instskip(NEXT) | instid1(VALU_DEP_1)
	v_lshlrev_b64_e32 v[2:3], 3, v[6:7]
	v_add_co_u32 v2, vcc_lo, v8, v2
	s_wait_alu 0xfffd
	s_delay_alu instid0(VALU_DEP_2)
	v_add_co_ci_u32_e32 v3, vcc_lo, v9, v3, vcc_lo
	global_store_b64 v[2:3], v[0:1], off
	global_load_b64 v[6:7], v78, s[12:13] offset:1440
	ds_load_2addr_b64 v[0:3], v83 offset0:180 offset1:200
	s_wait_loadcnt_dscnt 0x0
	v_mul_f32_e32 v10, v1, v7
	v_mul_f32_e32 v7, v0, v7
	s_delay_alu instid0(VALU_DEP_2) | instskip(NEXT) | instid1(VALU_DEP_2)
	v_fmac_f32_e32 v10, v0, v6
	v_fma_f32 v6, v6, v1, -v7
	s_delay_alu instid0(VALU_DEP_2) | instskip(NEXT) | instid1(VALU_DEP_2)
	v_cvt_f64_f32_e32 v[0:1], v10
	v_cvt_f64_f32_e32 v[6:7], v6
	s_delay_alu instid0(VALU_DEP_2) | instskip(NEXT) | instid1(VALU_DEP_2)
	v_mul_f64_e32 v[0:1], s[0:1], v[0:1]
	v_mul_f64_e32 v[6:7], s[0:1], v[6:7]
	s_delay_alu instid0(VALU_DEP_2) | instskip(NEXT) | instid1(VALU_DEP_2)
	v_cvt_f32_f64_e32 v0, v[0:1]
	v_cvt_f32_f64_e32 v1, v[6:7]
	v_mad_co_u64_u32 v[5:6], null, 0x140, s5, v[5:6]
	global_store_b64 v[4:5], v[0:1], off
	global_load_b64 v[0:1], v78, s[12:13] offset:1600
	v_add_co_u32 v4, vcc_lo, v4, s2
	s_wait_alu 0xfffd
	v_add_co_ci_u32_e32 v5, vcc_lo, s3, v5, vcc_lo
	s_wait_loadcnt 0x0
	v_mul_f32_e32 v6, v3, v1
	v_mul_f32_e32 v1, v2, v1
	s_delay_alu instid0(VALU_DEP_2) | instskip(NEXT) | instid1(VALU_DEP_2)
	v_fmac_f32_e32 v6, v2, v0
	v_fma_f32 v2, v0, v3, -v1
	s_delay_alu instid0(VALU_DEP_2) | instskip(NEXT) | instid1(VALU_DEP_2)
	v_cvt_f64_f32_e32 v[0:1], v6
	v_cvt_f64_f32_e32 v[2:3], v2
	s_delay_alu instid0(VALU_DEP_2) | instskip(NEXT) | instid1(VALU_DEP_2)
	v_mul_f64_e32 v[0:1], s[0:1], v[0:1]
	v_mul_f64_e32 v[2:3], s[0:1], v[2:3]
	s_delay_alu instid0(VALU_DEP_2) | instskip(NEXT) | instid1(VALU_DEP_2)
	v_cvt_f32_f64_e32 v0, v[0:1]
	v_cvt_f32_f64_e32 v1, v[2:3]
	global_store_b64 v[4:5], v[0:1], off
	global_load_b64 v[6:7], v78, s[12:13] offset:1760
	ds_load_2addr_b64 v[0:3], v83 offset0:220 offset1:240
	v_add_co_u32 v4, vcc_lo, v4, s2
	s_wait_alu 0xfffd
	v_add_co_ci_u32_e32 v5, vcc_lo, s3, v5, vcc_lo
	s_wait_loadcnt_dscnt 0x0
	v_mul_f32_e32 v10, v1, v7
	v_mul_f32_e32 v7, v0, v7
	s_delay_alu instid0(VALU_DEP_2) | instskip(NEXT) | instid1(VALU_DEP_2)
	v_fmac_f32_e32 v10, v0, v6
	v_fma_f32 v6, v6, v1, -v7
	s_delay_alu instid0(VALU_DEP_2) | instskip(NEXT) | instid1(VALU_DEP_2)
	v_cvt_f64_f32_e32 v[0:1], v10
	v_cvt_f64_f32_e32 v[6:7], v6
	v_add_nc_u32_e32 v10, 0x800, v83
	s_delay_alu instid0(VALU_DEP_3) | instskip(NEXT) | instid1(VALU_DEP_3)
	v_mul_f64_e32 v[0:1], s[0:1], v[0:1]
	v_mul_f64_e32 v[6:7], s[0:1], v[6:7]
	s_delay_alu instid0(VALU_DEP_2) | instskip(NEXT) | instid1(VALU_DEP_2)
	v_cvt_f32_f64_e32 v0, v[0:1]
	v_cvt_f32_f64_e32 v1, v[6:7]
	global_store_b64 v[4:5], v[0:1], off
	global_load_b64 v[0:1], v78, s[12:13] offset:1920
	v_add_co_u32 v4, vcc_lo, v4, s2
	s_wait_alu 0xfffd
	v_add_co_ci_u32_e32 v5, vcc_lo, s3, v5, vcc_lo
	s_wait_loadcnt 0x0
	v_mul_f32_e32 v6, v3, v1
	v_mul_f32_e32 v1, v2, v1
	s_delay_alu instid0(VALU_DEP_2) | instskip(NEXT) | instid1(VALU_DEP_2)
	v_fmac_f32_e32 v6, v2, v0
	v_fma_f32 v2, v0, v3, -v1
	s_delay_alu instid0(VALU_DEP_2) | instskip(NEXT) | instid1(VALU_DEP_2)
	v_cvt_f64_f32_e32 v[0:1], v6
	v_cvt_f64_f32_e32 v[2:3], v2
	s_delay_alu instid0(VALU_DEP_2) | instskip(NEXT) | instid1(VALU_DEP_2)
	v_mul_f64_e32 v[0:1], s[0:1], v[0:1]
	v_mul_f64_e32 v[2:3], s[0:1], v[2:3]
	s_delay_alu instid0(VALU_DEP_2) | instskip(NEXT) | instid1(VALU_DEP_2)
	v_cvt_f32_f64_e32 v0, v[0:1]
	v_cvt_f32_f64_e32 v1, v[2:3]
	global_store_b64 v[4:5], v[0:1], off
	global_load_b64 v[6:7], v78, s[12:13] offset:2080
	ds_load_2addr_b64 v[0:3], v10 offset0:4 offset1:24
	v_add_co_u32 v4, vcc_lo, v4, s2
	s_wait_alu 0xfffd
	v_add_co_ci_u32_e32 v5, vcc_lo, s3, v5, vcc_lo
	s_wait_loadcnt_dscnt 0x0
	v_mul_f32_e32 v11, v1, v7
	v_mul_f32_e32 v7, v0, v7
	s_delay_alu instid0(VALU_DEP_2) | instskip(NEXT) | instid1(VALU_DEP_2)
	v_fmac_f32_e32 v11, v0, v6
	v_fma_f32 v6, v6, v1, -v7
	s_delay_alu instid0(VALU_DEP_2) | instskip(NEXT) | instid1(VALU_DEP_2)
	v_cvt_f64_f32_e32 v[0:1], v11
	v_cvt_f64_f32_e32 v[6:7], v6
	s_delay_alu instid0(VALU_DEP_2) | instskip(NEXT) | instid1(VALU_DEP_2)
	v_mul_f64_e32 v[0:1], s[0:1], v[0:1]
	v_mul_f64_e32 v[6:7], s[0:1], v[6:7]
	s_delay_alu instid0(VALU_DEP_2) | instskip(NEXT) | instid1(VALU_DEP_2)
	v_cvt_f32_f64_e32 v0, v[0:1]
	v_cvt_f32_f64_e32 v1, v[6:7]
	global_store_b64 v[4:5], v[0:1], off
	global_load_b64 v[0:1], v78, s[12:13] offset:2240
	v_add_co_u32 v4, vcc_lo, v4, s2
	s_wait_alu 0xfffd
	v_add_co_ci_u32_e32 v5, vcc_lo, s3, v5, vcc_lo
	s_wait_loadcnt 0x0
	v_mul_f32_e32 v6, v3, v1
	v_mul_f32_e32 v1, v2, v1
	s_delay_alu instid0(VALU_DEP_2) | instskip(NEXT) | instid1(VALU_DEP_2)
	v_fmac_f32_e32 v6, v2, v0
	v_fma_f32 v2, v0, v3, -v1
	s_delay_alu instid0(VALU_DEP_2) | instskip(NEXT) | instid1(VALU_DEP_2)
	v_cvt_f64_f32_e32 v[0:1], v6
	v_cvt_f64_f32_e32 v[2:3], v2
	s_delay_alu instid0(VALU_DEP_2) | instskip(NEXT) | instid1(VALU_DEP_2)
	v_mul_f64_e32 v[0:1], s[0:1], v[0:1]
	v_mul_f64_e32 v[2:3], s[0:1], v[2:3]
	s_delay_alu instid0(VALU_DEP_2) | instskip(NEXT) | instid1(VALU_DEP_2)
	v_cvt_f32_f64_e32 v0, v[0:1]
	v_cvt_f32_f64_e32 v1, v[2:3]
	global_store_b64 v[4:5], v[0:1], off
	global_load_b64 v[6:7], v78, s[12:13] offset:2400
	ds_load_2addr_b64 v[0:3], v10 offset0:44 offset1:64
	v_add_co_u32 v4, vcc_lo, v4, s2
	s_wait_alu 0xfffd
	v_add_co_ci_u32_e32 v5, vcc_lo, s3, v5, vcc_lo
	s_wait_loadcnt_dscnt 0x0
	v_mul_f32_e32 v10, v1, v7
	v_mul_f32_e32 v7, v0, v7
	s_delay_alu instid0(VALU_DEP_2) | instskip(NEXT) | instid1(VALU_DEP_2)
	v_fmac_f32_e32 v10, v0, v6
	v_fma_f32 v6, v6, v1, -v7
	s_delay_alu instid0(VALU_DEP_2) | instskip(NEXT) | instid1(VALU_DEP_2)
	v_cvt_f64_f32_e32 v[0:1], v10
	v_cvt_f64_f32_e32 v[6:7], v6
	s_delay_alu instid0(VALU_DEP_2) | instskip(NEXT) | instid1(VALU_DEP_2)
	v_mul_f64_e32 v[0:1], s[0:1], v[0:1]
	v_mul_f64_e32 v[6:7], s[0:1], v[6:7]
	s_delay_alu instid0(VALU_DEP_2) | instskip(NEXT) | instid1(VALU_DEP_2)
	v_cvt_f32_f64_e32 v0, v[0:1]
	v_cvt_f32_f64_e32 v1, v[6:7]
	global_store_b64 v[4:5], v[0:1], off
	global_load_b64 v[0:1], v78, s[12:13] offset:2560
	s_wait_loadcnt 0x0
	v_mul_f32_e32 v4, v3, v1
	v_mul_f32_e32 v1, v2, v1
	s_delay_alu instid0(VALU_DEP_2) | instskip(NEXT) | instid1(VALU_DEP_2)
	v_fmac_f32_e32 v4, v2, v0
	v_fma_f32 v2, v0, v3, -v1
	s_delay_alu instid0(VALU_DEP_2) | instskip(NEXT) | instid1(VALU_DEP_2)
	v_cvt_f64_f32_e32 v[0:1], v4
	v_cvt_f64_f32_e32 v[2:3], v2
	v_mad_co_u64_u32 v[4:5], null, s4, v77, 0
	s_delay_alu instid0(VALU_DEP_3) | instskip(NEXT) | instid1(VALU_DEP_3)
	v_mul_f64_e32 v[0:1], s[0:1], v[0:1]
	v_mul_f64_e32 v[2:3], s[0:1], v[2:3]
	s_delay_alu instid0(VALU_DEP_2) | instskip(NEXT) | instid1(VALU_DEP_2)
	v_cvt_f32_f64_e32 v0, v[0:1]
	v_cvt_f32_f64_e32 v1, v[2:3]
	v_mov_b32_e32 v2, v5
	s_delay_alu instid0(VALU_DEP_1) | instskip(NEXT) | instid1(VALU_DEP_1)
	v_mad_co_u64_u32 v[2:3], null, s5, v77, v[2:3]
	v_mov_b32_e32 v5, v2
	s_delay_alu instid0(VALU_DEP_1) | instskip(NEXT) | instid1(VALU_DEP_1)
	v_lshlrev_b64_e32 v[2:3], 3, v[4:5]
	v_add_co_u32 v2, vcc_lo, v8, v2
	s_wait_alu 0xfffd
	s_delay_alu instid0(VALU_DEP_2)
	v_add_co_ci_u32_e32 v3, vcc_lo, v9, v3, vcc_lo
	global_store_b64 v[2:3], v[0:1], off
.LBB0_15:
	s_nop 0
	s_sendmsg sendmsg(MSG_DEALLOC_VGPRS)
	s_endpgm
	.section	.rodata,"a",@progbits
	.p2align	6, 0x0
	.amdhsa_kernel bluestein_single_fwd_len340_dim1_sp_op_CI_CI
		.amdhsa_group_segment_fixed_size 8160
		.amdhsa_private_segment_fixed_size 0
		.amdhsa_kernarg_size 104
		.amdhsa_user_sgpr_count 2
		.amdhsa_user_sgpr_dispatch_ptr 0
		.amdhsa_user_sgpr_queue_ptr 0
		.amdhsa_user_sgpr_kernarg_segment_ptr 1
		.amdhsa_user_sgpr_dispatch_id 0
		.amdhsa_user_sgpr_private_segment_size 0
		.amdhsa_wavefront_size32 1
		.amdhsa_uses_dynamic_stack 0
		.amdhsa_enable_private_segment 0
		.amdhsa_system_sgpr_workgroup_id_x 1
		.amdhsa_system_sgpr_workgroup_id_y 0
		.amdhsa_system_sgpr_workgroup_id_z 0
		.amdhsa_system_sgpr_workgroup_info 0
		.amdhsa_system_vgpr_workitem_id 0
		.amdhsa_next_free_vgpr 238
		.amdhsa_next_free_sgpr 16
		.amdhsa_reserve_vcc 1
		.amdhsa_float_round_mode_32 0
		.amdhsa_float_round_mode_16_64 0
		.amdhsa_float_denorm_mode_32 3
		.amdhsa_float_denorm_mode_16_64 3
		.amdhsa_fp16_overflow 0
		.amdhsa_workgroup_processor_mode 1
		.amdhsa_memory_ordered 1
		.amdhsa_forward_progress 0
		.amdhsa_round_robin_scheduling 0
		.amdhsa_exception_fp_ieee_invalid_op 0
		.amdhsa_exception_fp_denorm_src 0
		.amdhsa_exception_fp_ieee_div_zero 0
		.amdhsa_exception_fp_ieee_overflow 0
		.amdhsa_exception_fp_ieee_underflow 0
		.amdhsa_exception_fp_ieee_inexact 0
		.amdhsa_exception_int_div_zero 0
	.end_amdhsa_kernel
	.text
.Lfunc_end0:
	.size	bluestein_single_fwd_len340_dim1_sp_op_CI_CI, .Lfunc_end0-bluestein_single_fwd_len340_dim1_sp_op_CI_CI
                                        ; -- End function
	.section	.AMDGPU.csdata,"",@progbits
; Kernel info:
; codeLenInByte = 19740
; NumSgprs: 18
; NumVgprs: 238
; ScratchSize: 0
; MemoryBound: 0
; FloatMode: 240
; IeeeMode: 1
; LDSByteSize: 8160 bytes/workgroup (compile time only)
; SGPRBlocks: 2
; VGPRBlocks: 29
; NumSGPRsForWavesPerEU: 18
; NumVGPRsForWavesPerEU: 238
; Occupancy: 6
; WaveLimiterHint : 1
; COMPUTE_PGM_RSRC2:SCRATCH_EN: 0
; COMPUTE_PGM_RSRC2:USER_SGPR: 2
; COMPUTE_PGM_RSRC2:TRAP_HANDLER: 0
; COMPUTE_PGM_RSRC2:TGID_X_EN: 1
; COMPUTE_PGM_RSRC2:TGID_Y_EN: 0
; COMPUTE_PGM_RSRC2:TGID_Z_EN: 0
; COMPUTE_PGM_RSRC2:TIDIG_COMP_CNT: 0
	.text
	.p2alignl 7, 3214868480
	.fill 96, 4, 3214868480
	.type	__hip_cuid_d1efa620e974fdf7,@object ; @__hip_cuid_d1efa620e974fdf7
	.section	.bss,"aw",@nobits
	.globl	__hip_cuid_d1efa620e974fdf7
__hip_cuid_d1efa620e974fdf7:
	.byte	0                               ; 0x0
	.size	__hip_cuid_d1efa620e974fdf7, 1

	.ident	"AMD clang version 19.0.0git (https://github.com/RadeonOpenCompute/llvm-project roc-6.4.0 25133 c7fe45cf4b819c5991fe208aaa96edf142730f1d)"
	.section	".note.GNU-stack","",@progbits
	.addrsig
	.addrsig_sym __hip_cuid_d1efa620e974fdf7
	.amdgpu_metadata
---
amdhsa.kernels:
  - .args:
      - .actual_access:  read_only
        .address_space:  global
        .offset:         0
        .size:           8
        .value_kind:     global_buffer
      - .actual_access:  read_only
        .address_space:  global
        .offset:         8
        .size:           8
        .value_kind:     global_buffer
      - .actual_access:  read_only
        .address_space:  global
        .offset:         16
        .size:           8
        .value_kind:     global_buffer
      - .actual_access:  read_only
        .address_space:  global
        .offset:         24
        .size:           8
        .value_kind:     global_buffer
      - .actual_access:  read_only
        .address_space:  global
        .offset:         32
        .size:           8
        .value_kind:     global_buffer
      - .offset:         40
        .size:           8
        .value_kind:     by_value
      - .address_space:  global
        .offset:         48
        .size:           8
        .value_kind:     global_buffer
      - .address_space:  global
        .offset:         56
        .size:           8
        .value_kind:     global_buffer
      - .address_space:  global
        .offset:         64
        .size:           8
        .value_kind:     global_buffer
      - .address_space:  global
        .offset:         72
        .size:           8
        .value_kind:     global_buffer
      - .offset:         80
        .size:           4
        .value_kind:     by_value
      - .address_space:  global
        .offset:         88
        .size:           8
        .value_kind:     global_buffer
      - .address_space:  global
        .offset:         96
        .size:           8
        .value_kind:     global_buffer
    .group_segment_fixed_size: 8160
    .kernarg_segment_align: 8
    .kernarg_segment_size: 104
    .language:       OpenCL C
    .language_version:
      - 2
      - 0
    .max_flat_workgroup_size: 102
    .name:           bluestein_single_fwd_len340_dim1_sp_op_CI_CI
    .private_segment_fixed_size: 0
    .sgpr_count:     18
    .sgpr_spill_count: 0
    .symbol:         bluestein_single_fwd_len340_dim1_sp_op_CI_CI.kd
    .uniform_work_group_size: 1
    .uses_dynamic_stack: false
    .vgpr_count:     238
    .vgpr_spill_count: 0
    .wavefront_size: 32
    .workgroup_processor_mode: 1
amdhsa.target:   amdgcn-amd-amdhsa--gfx1201
amdhsa.version:
  - 1
  - 2
...

	.end_amdgpu_metadata
